;; amdgpu-corpus repo=ROCm/rocFFT kind=compiled arch=gfx1201 opt=O3
	.text
	.amdgcn_target "amdgcn-amd-amdhsa--gfx1201"
	.amdhsa_code_object_version 6
	.protected	bluestein_single_fwd_len1890_dim1_sp_op_CI_CI ; -- Begin function bluestein_single_fwd_len1890_dim1_sp_op_CI_CI
	.globl	bluestein_single_fwd_len1890_dim1_sp_op_CI_CI
	.p2align	8
	.type	bluestein_single_fwd_len1890_dim1_sp_op_CI_CI,@function
bluestein_single_fwd_len1890_dim1_sp_op_CI_CI: ; @bluestein_single_fwd_len1890_dim1_sp_op_CI_CI
; %bb.0:
	s_load_b128 s[8:11], s[0:1], 0x28
	v_mul_u32_u24_e32 v1, 0x209, v0
	s_mov_b32 s2, exec_lo
	v_mov_b32_e32 v149, 0
	s_delay_alu instid0(VALU_DEP_2) | instskip(NEXT) | instid1(VALU_DEP_1)
	v_lshrrev_b32_e32 v1, 16, v1
	v_add_nc_u32_e32 v148, ttmp9, v1
	s_wait_kmcnt 0x0
	s_delay_alu instid0(VALU_DEP_1)
	v_cmpx_gt_u64_e64 s[8:9], v[148:149]
	s_cbranch_execz .LBB0_23
; %bb.1:
	s_clause 0x1
	s_load_b128 s[4:7], s[0:1], 0x18
	s_load_b64 s[16:17], s[0:1], 0x0
	v_mul_lo_u16 v1, 0x7e, v1
	s_movk_i32 s2, 0xfccd
	s_mov_b32 s3, -1
	s_delay_alu instid0(VALU_DEP_1) | instskip(NEXT) | instid1(VALU_DEP_1)
	v_sub_nc_u16 v39, v0, v1
	v_and_b32_e32 v178, 0xffff, v39
	s_wait_kmcnt 0x0
	s_load_b128 s[12:15], s[4:5], 0x0
	s_wait_kmcnt 0x0
	v_mad_co_u64_u32 v[0:1], null, s14, v148, 0
	v_mad_co_u64_u32 v[2:3], null, s12, v178, 0
	s_mul_u64 s[4:5], s[12:13], 0x3b1
	s_mul_u64 s[2:3], s[12:13], s[2:3]
	s_delay_alu instid0(SALU_CYCLE_1) | instskip(NEXT) | instid1(VALU_DEP_1)
	s_lshl_b64 s[2:3], s[2:3], 3
	v_mad_co_u64_u32 v[4:5], null, s15, v148, v[1:2]
	s_delay_alu instid0(VALU_DEP_1) | instskip(NEXT) | instid1(VALU_DEP_3)
	v_mov_b32_e32 v1, v4
	v_mad_co_u64_u32 v[5:6], null, s13, v178, v[3:4]
	v_lshlrev_b32_e32 v177, 3, v178
	s_delay_alu instid0(VALU_DEP_3)
	v_lshlrev_b64_e32 v[0:1], 3, v[0:1]
	global_load_b64 v[157:158], v177, s[16:17] offset:7560
	v_mov_b32_e32 v3, v5
	s_clause 0x3
	global_load_b64 v[161:162], v177, s[16:17]
	global_load_b64 v[159:160], v177, s[16:17] offset:1008
	global_load_b64 v[144:145], v177, s[16:17] offset:2016
	;; [unrolled: 1-line block ×3, first 2 shown]
	v_add_co_u32 v0, vcc_lo, s10, v0
	v_add_co_ci_u32_e32 v1, vcc_lo, s11, v1, vcc_lo
	v_lshlrev_b64_e32 v[2:3], 3, v[2:3]
	s_lshl_b64 s[10:11], s[4:5], 3
	s_clause 0x6
	global_load_b64 v[155:156], v177, s[16:17] offset:8568
	global_load_b64 v[149:150], v177, s[16:17] offset:9576
	;; [unrolled: 1-line block ×7, first 2 shown]
	v_add_co_u32 v0, vcc_lo, v0, v2
	s_wait_alu 0xfffd
	v_add_co_ci_u32_e32 v1, vcc_lo, v1, v3, vcc_lo
	s_wait_alu 0xfffe
	s_delay_alu instid0(VALU_DEP_2) | instskip(SKIP_1) | instid1(VALU_DEP_2)
	v_add_co_u32 v2, vcc_lo, v0, s10
	s_wait_alu 0xfffd
	v_add_co_ci_u32_e32 v3, vcc_lo, s11, v1, vcc_lo
	global_load_b64 v[7:8], v[0:1], off
	v_add_co_u32 v4, vcc_lo, v2, s2
	s_wait_alu 0xfffd
	v_add_co_ci_u32_e32 v5, vcc_lo, s3, v3, vcc_lo
	s_delay_alu instid0(VALU_DEP_2) | instskip(SKIP_1) | instid1(VALU_DEP_2)
	v_add_co_u32 v0, vcc_lo, v4, s10
	s_wait_alu 0xfffd
	v_add_co_ci_u32_e32 v1, vcc_lo, s11, v5, vcc_lo
	s_clause 0x2
	global_load_b64 v[2:3], v[2:3], off
	global_load_b64 v[11:12], v[4:5], off
	;; [unrolled: 1-line block ×3, first 2 shown]
	v_add_co_u32 v9, vcc_lo, v0, s2
	s_wait_alu 0xfffd
	v_add_co_ci_u32_e32 v10, vcc_lo, s3, v1, vcc_lo
	s_delay_alu instid0(VALU_DEP_2) | instskip(SKIP_1) | instid1(VALU_DEP_2)
	v_add_co_u32 v0, vcc_lo, v9, s10
	s_wait_alu 0xfffd
	v_add_co_ci_u32_e32 v1, vcc_lo, s11, v10, vcc_lo
	global_load_b64 v[9:10], v[9:10], off
	v_add_co_u32 v4, vcc_lo, v0, s2
	s_wait_alu 0xfffd
	v_add_co_ci_u32_e32 v5, vcc_lo, s3, v1, vcc_lo
	global_load_b64 v[15:16], v[0:1], off
	;; [unrolled: 4-line block ×8, first 2 shown]
	v_add_co_u32 v0, vcc_lo, v4, s10
	s_wait_alu 0xfffd
	v_add_co_ci_u32_e32 v1, vcc_lo, s11, v5, vcc_lo
	v_cmp_gt_u16_e32 vcc_lo, 63, v39
	s_wait_loadcnt 0xb
	v_mul_f32_e32 v34, v7, v162
	s_delay_alu instid0(VALU_DEP_1)
	v_fma_f32 v34, v8, v161, -v34
	s_wait_loadcnt 0xa
	v_mul_f32_e32 v35, v3, v158
	s_wait_loadcnt 0x9
	v_mul_f32_e32 v38, v11, v160
	global_load_b64 v[151:152], v177, s[16:17] offset:6048
	global_load_b64 v[29:30], v[4:5], off
	global_load_b64 v[153:154], v177, s[16:17] offset:13608
	global_load_b64 v[31:32], v[0:1], off
	v_dual_mul_f32 v33, v8, v162 :: v_dual_add_nc_u32 v4, 0x2800, v177
	v_add_nc_u32_e32 v5, 0x400, v177
	v_mul_f32_e32 v37, v12, v160
	v_fmac_f32_e32 v35, v2, v157
	s_delay_alu instid0(VALU_DEP_4)
	v_fmac_f32_e32 v33, v7, v161
	v_mul_f32_e32 v7, v2, v158
	s_wait_loadcnt 0xc
	v_mul_f32_e32 v2, v14, v156
	v_fma_f32 v38, v12, v159, -v38
	s_wait_loadcnt 0xb
	v_dual_mul_f32 v8, v10, v145 :: v_dual_fmac_f32 v37, v11, v159
	v_fma_f32 v36, v3, v157, -v7
	v_mul_f32_e32 v3, v13, v156
	v_add_nc_u32_e32 v7, 0xc00, v177
	s_wait_loadcnt 0xa
	v_dual_mul_f32 v11, v16, v150 :: v_dual_fmac_f32 v2, v13, v155
	v_mul_f32_e32 v12, v15, v150
	v_fma_f32 v3, v14, v155, -v3
	s_wait_loadcnt 0x9
	v_dual_mul_f32 v14, v9, v145 :: v_dual_mul_f32 v13, v18, v135
	v_fmac_f32_e32 v8, v9, v144
	s_load_b64 s[8:9], s[0:1], 0x38
	s_load_b128 s[4:7], s[6:7], 0x0
	v_add_nc_u32_e32 v6, 0x2000, v177
	v_fma_f32 v9, v10, v144, -v14
	v_fma_f32 v12, v16, v149, -v12
	v_fmac_f32_e32 v13, v17, v134
	ds_store_b64 v177, v[35:36] offset:7560
	ds_store_2addr_b64 v177, v[33:34], v[37:38] offset1:126
	v_add_co_u32 v132, s12, s16, v177
	s_wait_loadcnt 0x7
	v_dual_mul_f32 v10, v22, v147 :: v_dual_fmac_f32 v11, v15, v149
	v_mul_f32_e32 v15, v17, v135
	s_wait_alu 0xf1ff
	v_add_co_ci_u32_e64 v133, null, s17, 0, s12
	s_delay_alu instid0(VALU_DEP_3)
	v_fmac_f32_e32 v10, v21, v146
	ds_store_2addr_b64 v6, v[2:3], v[11:12] offset0:47 offset1:173
	v_fma_f32 v14, v18, v134, -v15
	v_mul_f32_e32 v3, v19, v137
	v_mul_f32_e32 v2, v20, v137
	s_wait_loadcnt 0x5
	v_mul_f32_e32 v12, v25, v143
	ds_store_2addr_b64 v5, v[8:9], v[13:14] offset0:124 offset1:250
	v_mul_f32_e32 v9, v21, v147
	v_fma_f32 v3, v20, v136, -v3
	v_mul_f32_e32 v8, v24, v139
	v_fma_f32 v14, v26, v142, -v12
	s_wait_loadcnt 0x4
	v_dual_mul_f32 v12, v27, v141 :: v_dual_mul_f32 v13, v26, v143
	v_dual_fmac_f32 v2, v19, v136 :: v_dual_mul_f32 v15, v28, v141
	v_fmac_f32_e32 v8, v23, v138
	s_delay_alu instid0(VALU_DEP_3) | instskip(NEXT) | instid1(VALU_DEP_4)
	v_fma_f32 v16, v28, v140, -v12
	v_dual_fmac_f32 v13, v25, v142 :: v_dual_add_nc_u32 v12, 0x3000, v177
	s_delay_alu instid0(VALU_DEP_4)
	v_fmac_f32_e32 v15, v27, v140
	s_wait_loadcnt 0x2
	v_mul_f32_e32 v17, v30, v152
	v_mul_f32_e32 v18, v29, v152
	s_wait_loadcnt 0x0
	v_mul_f32_e32 v20, v31, v154
	v_fma_f32 v11, v22, v146, -v9
	v_mul_f32_e32 v9, v23, v139
	v_mul_f32_e32 v19, v32, v154
	v_fmac_f32_e32 v17, v29, v151
	v_fma_f32 v18, v30, v151, -v18
	v_fma_f32 v20, v32, v153, -v20
	;; [unrolled: 1-line block ×3, first 2 shown]
	v_fmac_f32_e32 v19, v31, v153
	ds_store_2addr_b64 v4, v[2:3], v[8:9] offset0:43 offset1:169
	ds_store_2addr_b64 v7, v[10:11], v[13:14] offset0:120 offset1:246
	ds_store_b64 v177, v[17:18] offset:6048
	ds_store_2addr_b64 v12, v[15:16], v[19:20] offset0:39 offset1:165
	s_and_saveexec_b32 s12, vcc_lo
	s_cbranch_execz .LBB0_3
; %bb.2:
	v_add_co_u32 v0, s2, v0, s2
	s_wait_alu 0xf1ff
	v_add_co_ci_u32_e64 v1, s2, s3, v1, s2
	s_delay_alu instid0(VALU_DEP_2) | instskip(SKIP_1) | instid1(VALU_DEP_2)
	v_add_co_u32 v2, s2, v0, s10
	s_wait_alu 0xf1ff
	v_add_co_ci_u32_e64 v3, s2, s11, v1, s2
	global_load_b64 v[0:1], v[0:1], off
	s_clause 0x1
	global_load_b64 v[8:9], v[132:133], off offset:7056
	global_load_b64 v[10:11], v[132:133], off offset:14616
	global_load_b64 v[2:3], v[2:3], off
	s_wait_loadcnt 0x2
	v_mul_f32_e32 v13, v1, v9
	s_wait_loadcnt 0x0
	v_dual_mul_f32 v14, v0, v9 :: v_dual_mul_f32 v9, v3, v11
	v_mul_f32_e32 v11, v2, v11
	s_delay_alu instid0(VALU_DEP_3) | instskip(NEXT) | instid1(VALU_DEP_3)
	v_fmac_f32_e32 v13, v0, v8
	v_fma_f32 v14, v1, v8, -v14
	s_delay_alu instid0(VALU_DEP_4) | instskip(NEXT) | instid1(VALU_DEP_4)
	v_fmac_f32_e32 v9, v2, v10
	v_fma_f32 v10, v3, v10, -v11
	ds_store_b64 v177, v[13:14] offset:7056
	ds_store_b64 v177, v[9:10] offset:14616
.LBB0_3:
	s_wait_alu 0xfffe
	s_or_b32 exec_lo, exec_lo, s12
	v_add_nc_u32_e32 v0, 0x1600, v177
	global_wb scope:SCOPE_SE
	s_wait_dscnt 0x0
	s_wait_kmcnt 0x0
	s_barrier_signal -1
	s_barrier_wait -1
	global_inv scope:SCOPE_SE
	ds_load_2addr_b64 v[16:19], v177 offset1:126
	ds_load_2addr_b64 v[0:3], v0 offset0:52 offset1:241
	ds_load_2addr_b64 v[24:27], v6 offset0:47 offset1:173
	;; [unrolled: 1-line block ×6, first 2 shown]
	s_load_b64 s[2:3], s[0:1], 0x8
                                        ; implicit-def: $vgpr30
                                        ; implicit-def: $vgpr28
	s_and_saveexec_b32 s0, vcc_lo
	s_cbranch_execz .LBB0_5
; %bb.4:
	ds_load_b64 v[28:29], v177 offset:7056
	ds_load_b64 v[30:31], v177 offset:14616
.LBB0_5:
	s_wait_alu 0xfffe
	s_or_b32 exec_lo, exec_lo, s0
	s_wait_dscnt 0x4
	v_dual_sub_f32 v40, v18, v24 :: v_dual_lshlrev_b32 v185, 4, v178
	s_wait_dscnt 0x3
	v_dual_sub_f32 v41, v19, v25 :: v_dual_sub_f32 v26, v8, v26
	v_add_co_u32 v123, s0, 0x7e, v178
	s_wait_alu 0xf1ff
	v_add_co_ci_u32_e64 v32, null, 0, 0, s0
	v_add_co_u32 v36, s0, 0x17a, v178
	v_dual_sub_f32 v34, v16, v2 :: v_dual_sub_f32 v35, v17, v3
	v_fma_f32 v38, v18, 2.0, -v40
	v_fma_f32 v39, v19, 2.0, -v41
	s_wait_dscnt 0x2
	v_dual_sub_f32 v27, v9, v27 :: v_dual_sub_f32 v18, v10, v20
	s_wait_dscnt 0x1
	v_dual_sub_f32 v19, v11, v21 :: v_dual_sub_f32 v22, v4, v22
	v_sub_f32_e32 v23, v5, v23
	s_wait_alu 0xf1ff
	v_add_co_ci_u32_e64 v32, null, 0, 0, s0
	v_add_co_u32 v37, s0, 0x1f8, v178
	s_wait_alu 0xf1ff
	v_add_co_ci_u32_e64 v32, null, 0, 0, s0
	v_fma_f32 v32, v16, 2.0, -v34
	v_fma_f32 v24, v8, 2.0, -v26
	;; [unrolled: 1-line block ×4, first 2 shown]
	s_wait_dscnt 0x0
	v_sub_f32_e32 v4, v6, v12
	v_fma_f32 v21, v5, 2.0, -v23
	v_dual_sub_f32 v5, v7, v13 :: v_dual_sub_f32 v8, v0, v14
	v_lshlrev_b16 v10, 1, v178
	v_add_co_u32 v122, null, 0xfc, v178
	v_add_co_u32 v42, null, 0x372, v178
	v_fma_f32 v25, v9, 2.0, -v27
	v_sub_f32_e32 v9, v1, v15
	v_fma_f32 v2, v6, 2.0, -v4
	v_fma_f32 v6, v0, 2.0, -v8
	v_and_b32_e32 v0, 0xffff, v10
	v_fma_f32 v33, v17, 2.0, -v35
	v_fma_f32 v17, v11, 2.0, -v19
	v_dual_sub_f32 v80, v28, v30 :: v_dual_sub_f32 v81, v29, v31
	s_delay_alu instid0(VALU_DEP_4)
	v_lshlrev_b32_e32 v179, 3, v0
	v_lshlrev_b32_e32 v181, 4, v123
	;; [unrolled: 1-line block ×6, first 2 shown]
	v_fma_f32 v3, v7, 2.0, -v5
	v_fma_f32 v7, v1, 2.0, -v9
	global_wb scope:SCOPE_SE
	s_wait_kmcnt 0x0
	s_barrier_signal -1
	s_barrier_wait -1
	global_inv scope:SCOPE_SE
	ds_store_b128 v179, v[32:35]
	ds_store_b128 v181, v[38:41]
	;; [unrolled: 1-line block ×5, first 2 shown]
	ds_store_b128 v185, v[2:5] offset:10080
	ds_store_b128 v185, v[6:9] offset:12096
	s_and_saveexec_b32 s0, vcc_lo
	s_cbranch_execz .LBB0_7
; %bb.6:
	v_fma_f32 v79, v29, 2.0, -v81
	v_fma_f32 v78, v28, 2.0, -v80
	ds_store_b128 v180, v[78:81]
.LBB0_7:
	s_wait_alu 0xfffe
	s_or_b32 exec_lo, exec_lo, s0
	v_and_b32_e32 v44, 1, v178
	global_wb scope:SCOPE_SE
	s_wait_dscnt 0x0
	s_barrier_signal -1
	s_barrier_wait -1
	global_inv scope:SCOPE_SE
	v_lshlrev_b32_e32 v0, 4, v44
	ds_load_b64 v[42:43], v177 offset:14112
	ds_load_2addr_b64 v[4:7], v177 offset1:126
	v_lshrrev_b32_e32 v45, 1, v178
	v_lshrrev_b32_e32 v46, 1, v123
	global_load_b128 v[0:3], v0, s[2:3]
	v_add_nc_u32_e32 v22, 0xc00, v177
	v_add_nc_u32_e32 v21, 0x2400, v177
	;; [unrolled: 1-line block ×6, first 2 shown]
	ds_load_2addr_b64 v[8:11], v22 offset0:120 offset1:246
	ds_load_2addr_b64 v[12:15], v21 offset0:108 offset1:234
	;; [unrolled: 1-line block ×6, first 2 shown]
	v_lshrrev_b32_e32 v47, 1, v122
	v_lshrrev_b32_e32 v48, 1, v36
	;; [unrolled: 1-line block ×3, first 2 shown]
	v_and_b32_e32 v23, 0xff, v178
	v_and_b32_e32 v16, 0xff, v123
	;; [unrolled: 1-line block ×5, first 2 shown]
	v_mul_u32_u24_e32 v45, 6, v45
	v_mul_u32_u24_e32 v46, 6, v46
	;; [unrolled: 1-line block ×5, first 2 shown]
	global_wb scope:SCOPE_SE
	s_wait_loadcnt_dscnt 0x0
	s_barrier_signal -1
	s_barrier_wait -1
	global_inv scope:SCOPE_SE
                                        ; implicit-def: $vgpr112
                                        ; implicit-def: $vgpr114
                                        ; implicit-def: $vgpr120
                                        ; implicit-def: $vgpr118
                                        ; implicit-def: $vgpr116
	v_mul_f32_e32 v83, v42, v3
	v_mul_u32_u24_e32 v57, 0xaaab, v52
	v_mul_f32_e32 v62, v11, v1
	v_mul_lo_u16 v53, 0xab, v23
	v_mul_f32_e32 v66, v25, v1
	v_mul_u32_u24_e32 v56, 0xaaab, v51
	v_mul_f32_e32 v67, v24, v1
	v_mul_lo_u16 v54, 0xab, v16
	v_mul_f32_e32 v71, v26, v1
	v_mul_u32_u24_e32 v55, 0xaaab, v50
	v_mul_f32_e32 v63, v10, v1
	v_or_b32_e32 v45, v45, v44
	v_or_b32_e32 v46, v46, v44
	;; [unrolled: 1-line block ×5, first 2 shown]
	v_lshrrev_b16 v49, 10, v53
	v_lshrrev_b16 v53, 10, v54
	v_lshrrev_b32_e32 v54, 18, v55
	v_lshrrev_b32_e32 v55, 18, v56
	;; [unrolled: 1-line block ×3, first 2 shown]
	v_dual_fmac_f32 v63, v11, v0 :: v_dual_lshlrev_b32 v190, 3, v45
	v_dual_mul_f32 v74, v39, v1 :: v_dual_lshlrev_b32 v187, 3, v48
	v_mul_lo_u16 v45, v53, 6
	s_delay_alu instid0(VALU_DEP_4)
	v_mul_lo_u16 v48, v56, 6
	v_dual_mul_f32 v75, v38, v1 :: v_dual_lshlrev_b32 v188, 3, v47
	v_dual_mul_f32 v79, v40, v1 :: v_dual_lshlrev_b32 v186, 3, v44
	v_mul_lo_u16 v44, v49, 6
	v_mul_lo_u16 v47, v55, 6
	v_sub_nc_u16 v45, v123, v45
	v_sub_nc_u16 v48, v37, v48
	v_dual_mul_f32 v70, v27, v1 :: v_dual_lshlrev_b32 v189, 3, v46
	v_sub_nc_u16 v44, v178, v44
	v_sub_nc_u16 v47, v36, v47
	v_mul_lo_u16 v46, v54, 6
	v_dual_mul_f32 v76, v35, v3 :: v_dual_and_b32 v45, 0xff, v45
	v_lshlrev_b16 v59, 4, v48
	v_mul_f32_e32 v64, v13, v3
	v_mul_f32_e32 v65, v12, v3
	;; [unrolled: 1-line block ×3, first 2 shown]
	v_and_b32_e32 v44, 0xff, v44
	v_lshlrev_b16 v58, 4, v47
	v_mul_f32_e32 v69, v14, v3
	v_fmac_f32_e32 v65, v13, v2
	v_mul_f32_e32 v72, v33, v3
	v_mul_f32_e32 v73, v32, v3
	v_sub_nc_u16 v46, v122, v46
	v_dual_mul_f32 v82, v43, v3 :: v_dual_lshlrev_b32 v61, 4, v45
	v_dual_mul_f32 v78, v41, v1 :: v_dual_and_b32 v59, 0xffff, v59
	v_mul_f32_e32 v77, v34, v3
	v_fma_f32 v10, v10, v0, -v62
	v_fma_f32 v11, v12, v2, -v64
	v_fma_f32 v13, v14, v2, -v68
	v_fma_f32 v14, v26, v0, -v70
	v_dual_fmac_f32 v69, v15, v2 :: v_dual_lshlrev_b32 v60, 4, v44
	v_dual_fmac_f32 v67, v25, v0 :: v_dual_and_b32 v58, 0xffff, v58
	v_fma_f32 v12, v24, v0, -v66
	v_fma_f32 v15, v32, v2, -v72
	v_dual_fmac_f32 v71, v27, v0 :: v_dual_add_f32 v64, v28, v14
	v_fmac_f32_e32 v73, v33, v2
	v_lshlrev_b16 v57, 4, v46
	v_fma_f32 v24, v38, v0, -v74
	v_dual_fmac_f32 v75, v39, v0 :: v_dual_add_f32 v66, v14, v15
	v_fma_f32 v26, v34, v2, -v76
	v_dual_fmac_f32 v77, v35, v2 :: v_dual_add_f32 v68, v29, v71
	;; [unrolled: 2-line block ×4, first 2 shown]
	v_dual_add_f32 v33, v10, v11 :: v_dual_add_f32 v62, v67, v69
	v_dual_add_f32 v27, v4, v10 :: v_dual_sub_f32 v42, v67, v69
	v_dual_add_f32 v41, v12, v13 :: v_dual_add_f32 v78, v31, v75
	v_dual_sub_f32 v34, v63, v65 :: v_dual_add_f32 v35, v5, v63
	v_add_f32_e32 v70, v71, v73
	v_dual_add_f32 v40, v6, v12 :: v_dual_and_b32 v57, 0xffff, v57
	v_dual_sub_f32 v39, v10, v11 :: v_dual_add_f32 v74, v24, v26
	v_dual_add_f32 v43, v7, v67 :: v_dual_sub_f32 v82, v24, v26
	v_dual_sub_f32 v63, v12, v13 :: v_dual_sub_f32 v86, v79, v83
	v_dual_sub_f32 v67, v71, v73 :: v_dual_sub_f32 v88, v25, v32
	;; [unrolled: 1-line block ×3, first 2 shown]
	v_dual_add_f32 v75, v75, v77 :: v_dual_add_f32 v14, v64, v15
	v_dual_add_f32 v84, v8, v25 :: v_dual_add_f32 v85, v25, v32
	;; [unrolled: 1-line block ×4, first 2 shown]
	v_fma_f32 v4, -0.5, v33, v4
	v_fma_f32 v5, -0.5, v38, v5
	v_dual_add_f32 v10, v27, v11 :: v_dual_fmac_f32 v7, -0.5, v62
	v_fma_f32 v6, -0.5, v41, v6
	v_fma_f32 v24, -0.5, v66, v28
	;; [unrolled: 1-line block ×3, first 2 shown]
	v_dual_add_f32 v11, v35, v65 :: v_dual_add_f32 v28, v84, v32
	v_dual_add_f32 v13, v43, v69 :: v_dual_fmamk_f32 v32, v34, 0x3f5db3d7, v4
	v_fma_f32 v30, -0.5, v74, v30
	v_fmac_f32_e32 v31, -0.5, v75
	v_fma_f32 v8, -0.5, v85, v8
	v_dual_fmac_f32 v9, -0.5, v79 :: v_dual_fmamk_f32 v38, v67, 0x3f5db3d7, v24
	v_dual_fmamk_f32 v33, v39, 0xbf5db3d7, v5 :: v_dual_fmac_f32 v24, 0xbf5db3d7, v67
	v_dual_add_f32 v15, v68, v73 :: v_dual_fmac_f32 v4, 0xbf5db3d7, v34
	v_dual_fmac_f32 v5, 0x3f5db3d7, v39 :: v_dual_fmamk_f32 v34, v42, 0x3f5db3d7, v6
	v_fmamk_f32 v35, v63, 0xbf5db3d7, v7
	v_dual_add_f32 v27, v78, v77 :: v_dual_fmac_f32 v6, 0xbf5db3d7, v42
	v_fmac_f32_e32 v7, 0x3f5db3d7, v63
	v_fmamk_f32 v39, v71, 0xbf5db3d7, v25
	v_dual_add_f32 v29, v87, v83 :: v_dual_fmamk_f32 v40, v76, 0x3f5db3d7, v30
	v_fmac_f32_e32 v25, 0x3f5db3d7, v71
	v_dual_fmac_f32 v30, 0xbf5db3d7, v76 :: v_dual_fmamk_f32 v41, v82, 0xbf5db3d7, v31
	v_dual_fmac_f32 v31, 0x3f5db3d7, v82 :: v_dual_fmamk_f32 v42, v86, 0x3f5db3d7, v8
	;; [unrolled: 1-line block ×3, first 2 shown]
	v_fmac_f32_e32 v9, 0x3f5db3d7, v88
	ds_store_2addr_b64 v190, v[10:11], v[32:33] offset1:2
	ds_store_b64 v190, v[4:5] offset:32
	ds_store_2addr_b64 v189, v[12:13], v[34:35] offset1:2
	ds_store_b64 v189, v[6:7] offset:32
	;; [unrolled: 2-line block ×5, first 2 shown]
	v_add_co_u32 v4, s0, s2, v57
	s_wait_alu 0xf1ff
	v_add_co_ci_u32_e64 v5, null, s3, 0, s0
	global_wb scope:SCOPE_SE
	s_wait_dscnt 0x0
	s_barrier_signal -1
	s_barrier_wait -1
	global_inv scope:SCOPE_SE
	s_clause 0x2
	global_load_b128 v[32:35], v60, s[2:3] offset:32
	global_load_b128 v[28:31], v61, s[2:3] offset:32
	global_load_b128 v[12:15], v[4:5], off offset:32
	v_add_co_u32 v6, s0, s2, v58
	s_wait_alu 0xf1ff
	v_add_co_ci_u32_e64 v7, null, s3, 0, s0
	v_add_co_u32 v4, s0, s2, v59
	s_wait_alu 0xf1ff
	v_add_co_ci_u32_e64 v5, null, s3, 0, s0
	s_clause 0x1
	global_load_b128 v[8:11], v[6:7], off offset:32
	global_load_b128 v[4:7], v[4:5], off offset:32
	v_mul_u32_u24_e32 v38, 0xe38f, v52
	v_mul_u32_u24_e32 v26, 0xe38f, v50
	;; [unrolled: 1-line block ×3, first 2 shown]
	v_mul_lo_u16 v24, v23, 57
	v_mul_lo_u16 v25, v16, 57
	v_lshrrev_b32_e32 v66, 20, v38
	v_lshrrev_b32_e32 v64, 20, v26
	v_lshrrev_b32_e32 v65, 20, v27
	v_lshrrev_b16 v62, 10, v24
	v_lshrrev_b16 v63, 10, v25
	v_mul_lo_u16 v40, v66, 18
	v_and_b32_e32 v24, 0xffff, v49
	v_and_b32_e32 v25, 0xffff, v53
	v_mul_lo_u16 v38, v64, 18
	v_mul_lo_u16 v39, v65, 18
	v_sub_nc_u16 v69, v37, v40
	ds_load_2addr_b64 v[40:43], v20 offset0:116 offset1:242
	v_mul_lo_u16 v26, v62, 18
	v_mul_lo_u16 v27, v63, 18
	v_mul_u32_u24_e32 v24, 18, v24
	v_mul_u32_u24_e32 v25, 18, v25
	v_sub_nc_u16 v67, v122, v38
	v_sub_nc_u16 v68, v36, v39
	v_mad_u16 v36, v54, 18, v46
	v_mad_u16 v37, v55, 18, v47
	v_sub_nc_u16 v26, v178, v26
	v_sub_nc_u16 v27, v123, v27
	v_mad_u16 v38, v56, 18, v48
	v_lshlrev_b16 v46, 4, v67
	v_lshlrev_b16 v47, 4, v68
	v_add_lshl_u32 v195, v24, v44, 3
	v_add_lshl_u32 v193, v25, v45, 3
	v_and_b32_e32 v44, 0xffff, v36
	v_and_b32_e32 v45, 0xffff, v37
	;; [unrolled: 1-line block ×4, first 2 shown]
	v_lshlrev_b16 v48, 4, v69
	v_and_b32_e32 v49, 0xffff, v38
	ds_load_2addr_b64 v[24:27], v22 offset0:120 offset1:246
	ds_load_2addr_b64 v[36:39], v21 offset0:108 offset1:234
	v_and_b32_e32 v74, 0xffff, v46
	v_and_b32_e32 v75, 0xffff, v47
	v_lshlrev_b32_e32 v192, 3, v45
	s_wait_loadcnt_dscnt 0x401
	v_dual_mul_f32 v77, v27, v33 :: v_dual_and_b32 v76, 0xffff, v48
	s_wait_loadcnt 0x3
	v_mul_f32_e32 v83, v41, v29
	s_wait_loadcnt 0x2
	v_dual_mul_f32 v87, v43, v13 :: v_dual_lshlrev_b32 v194, 3, v44
	ds_load_2addr_b64 v[44:47], v19 offset0:104 offset1:230
	v_mul_f32_e32 v88, v42, v13
	v_lshlrev_b32_e32 v191, 3, v49
	ds_load_2addr_b64 v[48:51], v18 offset0:112 offset1:238
	ds_load_2addr_b64 v[52:55], v177 offset1:126
	ds_load_2addr_b64 v[56:59], v17 offset0:124 offset1:250
	ds_load_b64 v[60:61], v177 offset:14112
	s_wait_dscnt 0x5
	v_dual_mul_f32 v78, v26, v33 :: v_dual_mul_f32 v79, v37, v35
	v_mul_f32_e32 v82, v36, v35
	v_dual_mul_f32 v84, v40, v29 :: v_dual_mul_f32 v85, v39, v31
	v_mul_f32_e32 v86, v38, v31
	v_lshlrev_b32_e32 v73, 4, v71
	v_fma_f32 v26, v26, v32, -v77
	v_fmac_f32_e32 v78, v27, v32
	v_fma_f32 v27, v36, v34, -v79
	v_fmac_f32_e32 v82, v37, v34
	;; [unrolled: 2-line block ×4, first 2 shown]
	v_fma_f32 v37, v42, v12, -v87
	s_wait_loadcnt_dscnt 0x103
	v_dual_mul_f32 v92, v48, v9 :: v_dual_mul_f32 v89, v45, v15
	v_dual_mul_f32 v90, v44, v15 :: v_dual_mul_f32 v91, v49, v9
	v_mul_f32_e32 v93, v47, v11
	s_wait_loadcnt 0x0
	v_dual_mul_f32 v94, v46, v11 :: v_dual_mul_f32 v95, v51, v5
	s_wait_dscnt 0x0
	v_dual_mul_f32 v96, v50, v5 :: v_dual_mul_f32 v97, v61, v7
	v_fmac_f32_e32 v88, v43, v12
	v_mul_f32_e32 v98, v60, v7
	v_fma_f32 v40, v44, v14, -v89
	v_dual_fmac_f32 v90, v45, v14 :: v_dual_add_f32 v43, v26, v27
	v_fma_f32 v39, v48, v8, -v91
	v_dual_fmac_f32 v92, v49, v8 :: v_dual_sub_f32 v49, v78, v82
	v_fma_f32 v44, v46, v10, -v93
	v_dual_fmac_f32 v94, v47, v10 :: v_dual_add_f32 v79, v56, v37
	v_fma_f32 v41, v50, v4, -v95
	v_dual_fmac_f32 v96, v51, v4 :: v_dual_add_f32 v45, v53, v78
	;; [unrolled: 2-line block ×3, first 2 shown]
	v_add_f32_e32 v47, v78, v82
	v_dual_sub_f32 v50, v26, v27 :: v_dual_add_f32 v51, v36, v38
	v_dual_add_f32 v48, v54, v36 :: v_dual_add_f32 v77, v84, v86
	v_dual_add_f32 v42, v52, v26 :: v_dual_add_f32 v83, v37, v40
	;; [unrolled: 1-line block ×3, first 2 shown]
	v_dual_sub_f32 v60, v84, v86 :: v_dual_add_f32 v85, v57, v88
	v_dual_sub_f32 v78, v36, v38 :: v_dual_add_f32 v89, v58, v39
	;; [unrolled: 1-line block ×3, first 2 shown]
	v_dual_sub_f32 v88, v37, v40 :: v_dual_sub_f32 v93, v92, v94
	v_dual_add_f32 v26, v42, v27 :: v_dual_add_f32 v95, v59, v92
	v_dual_add_f32 v92, v92, v94 :: v_dual_sub_f32 v97, v39, v44
	v_dual_add_f32 v100, v41, v46 :: v_dual_add_f32 v99, v24, v41
	v_dual_add_f32 v40, v79, v40 :: v_dual_sub_f32 v101, v96, v98
	v_add_f32_e32 v44, v89, v44
	v_dual_add_f32 v96, v96, v98 :: v_dual_fmac_f32 v55, -0.5, v77
	v_fma_f32 v36, -0.5, v43, v52
	v_fma_f32 v37, -0.5, v47, v53
	;; [unrolled: 1-line block ×5, first 2 shown]
	v_lshlrev_b32_e32 v72, 4, v70
	v_sub_f32_e32 v103, v41, v46
	v_add_f32_e32 v27, v45, v82
	v_dual_add_f32 v38, v48, v38 :: v_dual_fmac_f32 v59, -0.5, v92
	v_fma_f32 v58, -0.5, v91, v58
	v_dual_add_f32 v45, v95, v94 :: v_dual_fmamk_f32 v48, v49, 0x3f5db3d7, v36
	v_dual_add_f32 v46, v99, v46 :: v_dual_fmac_f32 v25, -0.5, v96
	v_fma_f32 v24, -0.5, v100, v24
	v_dual_fmac_f32 v36, 0xbf5db3d7, v49 :: v_dual_fmamk_f32 v49, v50, 0xbf5db3d7, v37
	v_dual_fmac_f32 v37, 0x3f5db3d7, v50 :: v_dual_fmamk_f32 v56, v93, 0x3f5db3d7, v58
	v_dual_add_f32 v39, v61, v86 :: v_dual_fmamk_f32 v50, v60, 0x3f5db3d7, v54
	v_dual_fmac_f32 v54, 0xbf5db3d7, v60 :: v_dual_fmamk_f32 v51, v78, 0xbf5db3d7, v55
	v_dual_fmac_f32 v55, 0x3f5db3d7, v78 :: v_dual_fmamk_f32 v60, v101, 0x3f5db3d7, v24
	v_dual_add_f32 v41, v85, v90 :: v_dual_fmamk_f32 v52, v84, 0x3f5db3d7, v42
	v_fmamk_f32 v53, v88, 0xbf5db3d7, v43
	global_wb scope:SCOPE_SE
	s_barrier_signal -1
	s_barrier_wait -1
	global_inv scope:SCOPE_SE
	v_dual_add_f32 v47, v102, v98 :: v_dual_fmac_f32 v42, 0xbf5db3d7, v84
	v_fmac_f32_e32 v43, 0x3f5db3d7, v88
	v_dual_fmac_f32 v58, 0xbf5db3d7, v93 :: v_dual_fmamk_f32 v57, v97, 0xbf5db3d7, v59
	v_fmac_f32_e32 v59, 0x3f5db3d7, v97
	v_dual_fmac_f32 v24, 0xbf5db3d7, v101 :: v_dual_fmamk_f32 v61, v103, 0xbf5db3d7, v25
	v_fmac_f32_e32 v25, 0x3f5db3d7, v103
	ds_store_2addr_b64 v195, v[26:27], v[48:49] offset1:6
	ds_store_b64 v195, v[36:37] offset:96
	ds_store_2addr_b64 v193, v[38:39], v[50:51] offset1:6
	ds_store_b64 v193, v[54:55] offset:96
	;; [unrolled: 2-line block ×5, first 2 shown]
	global_wb scope:SCOPE_SE
	s_wait_dscnt 0x0
	s_barrier_signal -1
	s_barrier_wait -1
	global_inv scope:SCOPE_SE
	s_clause 0x1
	global_load_b128 v[52:55], v72, s[2:3] offset:128
	global_load_b128 v[48:51], v73, s[2:3] offset:128
	v_add_co_u32 v24, s0, s2, v74
	s_wait_alu 0xf1ff
	v_add_co_ci_u32_e64 v25, null, s3, 0, s0
	v_add_co_u32 v26, s0, s2, v75
	s_wait_alu 0xf1ff
	v_add_co_ci_u32_e64 v27, null, s3, 0, s0
	global_load_b128 v[44:47], v[24:25], off offset:128
	v_add_co_u32 v24, s0, s2, v76
	s_wait_alu 0xf1ff
	v_add_co_ci_u32_e64 v25, null, s3, 0, s0
	s_clause 0x1
	global_load_b128 v[40:43], v[26:27], off offset:128
	global_load_b128 v[36:39], v[24:25], off offset:128
	ds_load_2addr_b64 v[82:85], v22 offset0:120 offset1:246
	v_and_b32_e32 v24, 0xffff, v62
	v_and_b32_e32 v25, 0xffff, v63
	v_mad_u16 v56, v65, 54, v68
	v_mad_u16 v62, v66, 54, v69
	v_cmp_gt_u16_e64 s0, 18, v178
	s_delay_alu instid0(VALU_DEP_4) | instskip(NEXT) | instid1(VALU_DEP_1)
	v_mul_u32_u24_e32 v61, 54, v25
	v_add_lshl_u32 v199, v61, v71, 3
	s_wait_loadcnt_dscnt 0x400
	v_mul_f32_e32 v73, v84, v53
	v_mul_u32_u24_e32 v60, 54, v24
	v_mad_u16 v24, v64, 54, v67
	v_mul_f32_e32 v72, v85, v53
	s_delay_alu instid0(VALU_DEP_3) | instskip(NEXT) | instid1(VALU_DEP_3)
	v_add_lshl_u32 v200, v60, v70, 3
	v_and_b32_e32 v22, 0xffff, v24
	ds_load_2addr_b64 v[24:27], v21 offset0:108 offset1:234
	v_and_b32_e32 v21, 0xffff, v56
	ds_load_2addr_b64 v[56:59], v20 offset0:116 offset1:242
	v_and_b32_e32 v60, 0xffff, v62
	v_add_nc_u32_e32 v74, 0x800, v177
	v_add_nc_u32_e32 v75, 0x1000, v177
	v_lshlrev_b32_e32 v197, 3, v21
	v_add_nc_u32_e32 v76, 0x1800, v177
	v_fma_f32 v72, v84, v52, -v72
	s_wait_loadcnt_dscnt 0x301
	v_mul_f32_e32 v91, v26, v51
	v_mul_f32_e32 v87, v24, v55
	s_wait_dscnt 0x0
	v_dual_mul_f32 v89, v56, v49 :: v_dual_lshlrev_b32 v198, 3, v22
	ds_load_2addr_b64 v[19:22], v19 offset0:104 offset1:230
	s_wait_loadcnt 0x2
	v_dual_mul_f32 v93, v58, v45 :: v_dual_lshlrev_b32 v196, 3, v60
	ds_load_2addr_b64 v[60:63], v18 offset0:112 offset1:238
	ds_load_2addr_b64 v[64:67], v177 offset1:126
	ds_load_2addr_b64 v[68:71], v17 offset0:124 offset1:250
	ds_load_b64 v[17:18], v177 offset:14112
	v_add_nc_u32_e32 v77, 0x2000, v177
	v_add_nc_u32_e32 v78, 0x2800, v177
	v_mul_f32_e32 v88, v57, v49
	v_mul_f32_e32 v90, v27, v51
	;; [unrolled: 1-line block ×3, first 2 shown]
	v_dual_mul_f32 v86, v25, v55 :: v_dual_add_nc_u32 v79, 0x3000, v177
	v_fmac_f32_e32 v89, v57, v48
	s_delay_alu instid0(VALU_DEP_4) | instskip(SKIP_1) | instid1(VALU_DEP_4)
	v_fma_f32 v26, v26, v50, -v90
	v_fmac_f32_e32 v93, v59, v44
	v_fma_f32 v24, v24, v54, -v86
	global_wb scope:SCOPE_SE
	s_wait_loadcnt_dscnt 0x0
	s_barrier_signal -1
	s_barrier_wait -1
	global_inv scope:SCOPE_SE
	v_mul_f32_e32 v94, v20, v47
	v_dual_mul_f32 v95, v19, v47 :: v_dual_mul_f32 v96, v61, v41
	v_mul_f32_e32 v98, v22, v43
	v_dual_mul_f32 v99, v21, v43 :: v_dual_mul_f32 v100, v63, v37
	s_delay_alu instid0(VALU_DEP_3)
	v_fmac_f32_e32 v95, v20, v46
	v_fmac_f32_e32 v91, v27, v50
	v_fma_f32 v27, v58, v44, -v92
	v_fmac_f32_e32 v87, v25, v54
	v_fma_f32 v25, v56, v48, -v88
	v_fma_f32 v56, v19, v46, -v94
	;; [unrolled: 1-line block ×3, first 2 shown]
	v_mul_f32_e32 v101, v62, v37
	v_mul_f32_e32 v102, v18, v39
	;; [unrolled: 1-line block ×3, first 2 shown]
	s_delay_alu instid0(VALU_DEP_4)
	v_dual_fmac_f32 v73, v85, v52 :: v_dual_add_f32 v92, v70, v19
	v_dual_sub_f32 v90, v27, v56 :: v_dual_mul_f32 v97, v60, v41
	v_fma_f32 v57, v21, v42, -v98
	v_fma_f32 v20, v62, v36, -v100
	;; [unrolled: 1-line block ×3, first 2 shown]
	v_dual_fmac_f32 v103, v18, v38 :: v_dual_add_f32 v18, v72, v24
	v_sub_f32_e32 v62, v72, v24
	v_dual_fmac_f32 v101, v63, v36 :: v_dual_sub_f32 v84, v25, v26
	v_dual_fmac_f32 v99, v22, v42 :: v_dual_add_f32 v22, v73, v87
	v_dual_fmac_f32 v97, v61, v40 :: v_dual_sub_f32 v98, v19, v57
	v_dual_sub_f32 v61, v73, v87 :: v_dual_add_f32 v100, v82, v20
	v_dual_add_f32 v21, v65, v73 :: v_dual_add_f32 v102, v20, v58
	v_add_f32_e32 v17, v64, v72
	v_dual_add_f32 v59, v66, v25 :: v_dual_sub_f32 v106, v20, v58
	v_add_f32_e32 v60, v25, v26
	v_add_f32_e32 v88, v69, v93
	v_sub_f32_e32 v86, v93, v95
	v_dual_add_f32 v96, v71, v97 :: v_dual_sub_f32 v63, v89, v91
	v_dual_add_f32 v72, v67, v89 :: v_dual_add_f32 v73, v89, v91
	v_dual_add_f32 v58, v100, v58 :: v_dual_add_f32 v85, v27, v56
	v_fma_f32 v20, -0.5, v22, v65
	s_delay_alu instid0(VALU_DEP_3)
	v_add_f32_e32 v22, v72, v91
	v_add_f32_e32 v89, v93, v95
	;; [unrolled: 1-line block ×3, first 2 shown]
	v_fma_f32 v19, -0.5, v18, v64
	v_add_f32_e32 v25, v68, v27
	v_sub_f32_e32 v104, v101, v103
	v_sub_f32_e32 v94, v97, v99
	v_dual_add_f32 v18, v21, v87 :: v_dual_add_f32 v21, v59, v26
	v_fma_f32 v66, -0.5, v60, v66
	v_fma_f32 v26, -0.5, v85, v68
	v_add_f32_e32 v17, v17, v24
	v_fmamk_f32 v60, v61, 0x3f5db3d7, v19
	v_add_f32_e32 v24, v25, v56
	v_dual_add_f32 v56, v92, v57 :: v_dual_add_f32 v97, v97, v99
	v_add_f32_e32 v105, v83, v101
	v_dual_add_f32 v101, v101, v103 :: v_dual_fmamk_f32 v64, v86, 0x3f5db3d7, v26
	v_fma_f32 v70, -0.5, v93, v70
	v_fmac_f32_e32 v67, -0.5, v73
	v_fmac_f32_e32 v19, 0xbf5db3d7, v61
	v_fmamk_f32 v61, v62, 0xbf5db3d7, v20
	v_fmac_f32_e32 v20, 0x3f5db3d7, v62
	v_fma_f32 v27, -0.5, v89, v69
	v_fma_f32 v82, -0.5, v102, v82
	v_dual_fmac_f32 v83, -0.5, v101 :: v_dual_fmamk_f32 v62, v63, 0x3f5db3d7, v66
	v_dual_fmac_f32 v71, -0.5, v97 :: v_dual_fmac_f32 v66, 0xbf5db3d7, v63
	s_delay_alu instid0(VALU_DEP_3)
	v_fmamk_f32 v72, v104, 0x3f5db3d7, v82
	v_fmamk_f32 v68, v94, 0x3f5db3d7, v70
	v_dual_fmac_f32 v70, 0xbf5db3d7, v94 :: v_dual_fmamk_f32 v63, v84, 0xbf5db3d7, v67
	v_fmac_f32_e32 v67, 0x3f5db3d7, v84
	v_dual_add_f32 v25, v88, v95 :: v_dual_fmac_f32 v82, 0xbf5db3d7, v104
	v_fmamk_f32 v65, v90, 0xbf5db3d7, v27
	v_add_f32_e32 v57, v96, v99
	v_dual_add_f32 v59, v105, v103 :: v_dual_fmac_f32 v26, 0xbf5db3d7, v86
	v_fmac_f32_e32 v27, 0x3f5db3d7, v90
	v_fmamk_f32 v69, v98, 0xbf5db3d7, v71
	v_fmac_f32_e32 v71, 0x3f5db3d7, v98
	v_fmamk_f32 v73, v106, 0xbf5db3d7, v83
	v_fmac_f32_e32 v83, 0x3f5db3d7, v106
	ds_store_2addr_b64 v200, v[17:18], v[60:61] offset1:18
	ds_store_b64 v200, v[19:20] offset:288
	ds_store_2addr_b64 v199, v[21:22], v[62:63] offset1:18
	ds_store_b64 v199, v[66:67] offset:288
	;; [unrolled: 2-line block ×5, first 2 shown]
	global_wb scope:SCOPE_SE
	s_wait_dscnt 0x0
	s_barrier_signal -1
	s_barrier_wait -1
	global_inv scope:SCOPE_SE
	ds_load_2addr_b64 v[84:87], v177 offset1:126
	ds_load_2addr_b64 v[108:111], v74 offset0:14 offset1:140
	ds_load_2addr_b64 v[104:107], v75 offset0:28 offset1:154
	;; [unrolled: 1-line block ×6, first 2 shown]
	s_and_saveexec_b32 s1, s0
	s_cbranch_execz .LBB0_9
; %bb.8:
	ds_load_b64 v[82:83], v177 offset:2016
	ds_load_b64 v[80:81], v177 offset:4176
	;; [unrolled: 1-line block ×7, first 2 shown]
.LBB0_9:
	s_wait_alu 0xfffe
	s_or_b32 exec_lo, exec_lo, s1
	v_mul_lo_u16 v17, v23, 19
	v_mul_lo_u16 v16, v16, 19
	s_delay_alu instid0(VALU_DEP_2) | instskip(NEXT) | instid1(VALU_DEP_2)
	v_lshrrev_b16 v125, 10, v17
	v_lshrrev_b16 v126, 10, v16
	s_delay_alu instid0(VALU_DEP_2) | instskip(NEXT) | instid1(VALU_DEP_2)
	v_mul_lo_u16 v17, v125, 54
	v_mul_lo_u16 v18, v126, 54
	s_delay_alu instid0(VALU_DEP_2) | instskip(NEXT) | instid1(VALU_DEP_2)
	v_sub_nc_u16 v17, v178, v17
	v_sub_nc_u16 v18, v123, v18
	s_delay_alu instid0(VALU_DEP_2) | instskip(NEXT) | instid1(VALU_DEP_1)
	v_and_b32_e32 v127, 0xff, v17
	v_mad_co_u64_u32 v[16:17], null, v127, 48, s[2:3]
	s_clause 0x1
	global_load_b128 v[76:79], v[16:17], off offset:416
	global_load_b128 v[72:75], v[16:17], off offset:432
	v_and_b32_e32 v125, 0xffff, v125
	v_and_b32_e32 v128, 0xff, v18
	;; [unrolled: 1-line block ×3, first 2 shown]
	s_wait_loadcnt_dscnt 0x104
	v_mul_f32_e32 v130, v104, v79
	s_wait_loadcnt_dscnt 0x2
	v_dual_mul_f32 v163, v100, v73 :: v_dual_mul_f32 v164, v97, v75
	v_mul_u32_u24_e32 v125, 0x17a, v125
	v_mul_u32_u24_e32 v126, 0x17a, v126
	v_mul_f32_e32 v165, v96, v75
	v_mul_f32_e32 v129, v105, v79
	v_fma_f32 v96, v96, v74, -v164
	v_add_lshl_u32 v202, v125, v127, 3
	v_mul_f32_e32 v127, v109, v77
	v_mad_co_u64_u32 v[18:19], null, v128, 48, s[2:3]
	s_clause 0x3
	global_load_b128 v[68:71], v[16:17], off offset:448
	global_load_b128 v[64:67], v[18:19], off offset:416
	;; [unrolled: 1-line block ×4, first 2 shown]
	v_lshrrev_b16 v16, 1, v122
	v_add_lshl_u32 v201, v126, v128, 3
	v_dual_mul_f32 v128, v108, v77 :: v_dual_add_nc_u32 v125, 0x400, v202
	v_fma_f32 v108, v108, v76, -v127
	s_delay_alu instid0(VALU_DEP_4) | instskip(NEXT) | instid1(VALU_DEP_4)
	v_and_b32_e32 v16, 0xffff, v16
	v_add_nc_u32_e32 v126, 0x400, v201
	v_fma_f32 v104, v104, v78, -v129
	v_mul_f32_e32 v131, v101, v73
	s_delay_alu instid0(VALU_DEP_4) | instskip(NEXT) | instid1(VALU_DEP_2)
	v_mul_u32_u24_e32 v16, 0x97b5, v16
	v_fma_f32 v100, v100, v72, -v131
	s_delay_alu instid0(VALU_DEP_2) | instskip(NEXT) | instid1(VALU_DEP_1)
	v_lshrrev_b32_e32 v16, 20, v16
	v_mul_lo_u16 v16, v16, 54
	s_delay_alu instid0(VALU_DEP_1) | instskip(NEXT) | instid1(VALU_DEP_1)
	v_sub_nc_u16 v124, v122, v16
	v_mul_lo_u16 v16, v124, 48
	s_delay_alu instid0(VALU_DEP_1) | instskip(NEXT) | instid1(VALU_DEP_1)
	v_and_b32_e32 v16, 0xffff, v16
	v_add_co_u32 v24, s1, s2, v16
	s_wait_alu 0xf1ff
	v_add_co_ci_u32_e64 v25, null, s3, 0, s1
	s_clause 0x2
	global_load_b128 v[20:23], v[24:25], off offset:416
	global_load_b128 v[16:19], v[24:25], off offset:432
	;; [unrolled: 1-line block ×3, first 2 shown]
	global_wb scope:SCOPE_SE
	s_wait_loadcnt_dscnt 0x0
	s_barrier_signal -1
	s_barrier_wait -1
	global_inv scope:SCOPE_SE
	v_dual_mul_f32 v166, v93, v69 :: v_dual_mul_f32 v169, v88, v71
	v_dual_mul_f32 v167, v92, v69 :: v_dual_mul_f32 v168, v89, v71
	;; [unrolled: 1-line block ×8, first 2 shown]
	v_dual_fmac_f32 v128, v109, v76 :: v_dual_fmac_f32 v173, v107, v66
	v_dual_fmac_f32 v130, v105, v78 :: v_dual_fmac_f32 v171, v111, v64
	v_fma_f32 v92, v92, v68, -v166
	v_fma_f32 v88, v88, v70, -v168
	v_fmac_f32_e32 v165, v97, v74
	v_fmac_f32_e32 v169, v89, v70
	v_fma_f32 v89, v110, v64, -v170
	v_fma_f32 v97, v102, v60, -v174
	;; [unrolled: 1-line block ×5, first 2 shown]
	v_fmac_f32_e32 v207, v91, v58
	v_fmac_f32_e32 v167, v93, v68
	v_fma_f32 v93, v106, v66, -v172
	v_fmac_f32_e32 v203, v99, v62
	v_dual_fmac_f32 v205, v95, v56 :: v_dual_add_f32 v106, v89, v90
	v_add_f32_e32 v91, v108, v88
	v_sub_f32_e32 v88, v108, v88
	v_add_f32_e32 v108, v93, v94
	v_dual_sub_f32 v89, v89, v90 :: v_dual_sub_f32 v90, v171, v207
	v_dual_fmac_f32 v163, v101, v72 :: v_dual_add_f32 v102, v130, v167
	v_fmac_f32_e32 v175, v103, v60
	v_add_f32_e32 v101, v104, v92
	v_sub_f32_e32 v92, v104, v92
	v_dual_add_f32 v95, v128, v169 :: v_dual_add_f32 v110, v97, v98
	v_dual_add_f32 v104, v100, v96 :: v_dual_sub_f32 v93, v93, v94
	v_sub_f32_e32 v97, v98, v97
	v_sub_f32_e32 v103, v130, v167
	v_dual_add_f32 v105, v163, v165 :: v_dual_mul_f32 v130, v116, v23
	v_sub_f32_e32 v96, v96, v100
	v_dual_sub_f32 v100, v165, v163 :: v_dual_sub_f32 v99, v128, v169
	v_sub_f32_e32 v98, v203, v175
	v_add_f32_e32 v107, v171, v207
	s_delay_alu instid0(VALU_DEP_4)
	v_dual_add_f32 v109, v173, v205 :: v_dual_add_f32 v174, v96, v92
	v_dual_sub_f32 v94, v173, v205 :: v_dual_add_f32 v111, v175, v203
	v_dual_sub_f32 v176, v96, v92 :: v_dual_mul_f32 v127, v81, v21
	v_sub_f32_e32 v96, v88, v96
	v_dual_mul_f32 v128, v80, v21 :: v_dual_mul_f32 v129, v117, v23
	v_dual_mul_f32 v163, v112, v17 :: v_dual_add_f32 v170, v101, v91
	v_mul_f32_e32 v164, v119, v19
	v_dual_mul_f32 v165, v118, v19 :: v_dual_add_f32 v204, v108, v106
	v_mul_f32_e32 v166, v115, v25
	v_dual_mul_f32 v167, v114, v25 :: v_dual_sub_f32 v172, v101, v91
	v_mul_f32_e32 v168, v121, v27
	v_mul_f32_e32 v169, v120, v27
	v_dual_add_f32 v171, v102, v95 :: v_dual_sub_f32 v206, v108, v106
	v_dual_sub_f32 v173, v102, v95 :: v_dual_add_f32 v208, v97, v93
	v_dual_sub_f32 v91, v91, v104 :: v_dual_sub_f32 v210, v97, v93
	v_dual_sub_f32 v106, v106, v110 :: v_dual_sub_f32 v93, v93, v89
	v_dual_mul_f32 v131, v113, v17 :: v_dual_sub_f32 v92, v92, v88
	v_dual_sub_f32 v95, v95, v105 :: v_dual_sub_f32 v108, v110, v108
	v_dual_sub_f32 v101, v104, v101 :: v_dual_sub_f32 v102, v105, v102
	v_add_f32_e32 v175, v100, v103
	v_dual_sub_f32 v203, v100, v103 :: v_dual_fmac_f32 v128, v81, v20
	v_sub_f32_e32 v100, v99, v100
	v_dual_sub_f32 v103, v103, v99 :: v_dual_fmac_f32 v130, v117, v22
	v_dual_add_f32 v205, v109, v107 :: v_dual_add_f32 v104, v104, v170
	v_dual_sub_f32 v207, v109, v107 :: v_dual_add_f32 v88, v174, v88
	v_sub_f32_e32 v109, v111, v109
	v_add_f32_e32 v209, v98, v94
	v_fma_f32 v80, v80, v20, -v127
	v_fma_f32 v81, v116, v22, -v129
	v_fma_f32 v114, v114, v24, -v166
	v_fmac_f32_e32 v167, v115, v24
	v_fma_f32 v115, v120, v26, -v168
	v_fmac_f32_e32 v165, v119, v18
	v_fmac_f32_e32 v169, v121, v26
	v_mul_f32_e32 v106, 0x3f4a47b2, v106
	v_dual_sub_f32 v211, v98, v94 :: v_dual_mul_f32 v166, 0x3f5ff5aa, v93
	v_dual_sub_f32 v94, v94, v90 :: v_dual_fmac_f32 v163, v113, v16
	v_dual_sub_f32 v97, v89, v97 :: v_dual_add_f32 v110, v110, v204
	v_dual_sub_f32 v98, v90, v98 :: v_dual_sub_f32 v107, v107, v111
	v_mul_f32_e32 v116, 0x3d64c772, v101
	v_fma_f32 v112, v112, v16, -v131
	v_fma_f32 v113, v118, v18, -v164
	v_dual_add_f32 v105, v105, v171 :: v_dual_mul_f32 v168, 0x3f5ff5aa, v94
	v_add_f32_e32 v99, v175, v99
	v_mul_f32_e32 v95, 0x3f4a47b2, v95
	v_dual_mul_f32 v118, 0xbf08b237, v176 :: v_dual_mul_f32 v119, 0xbf08b237, v203
	v_add_f32_e32 v84, v84, v104
	v_dual_mul_f32 v120, 0x3f5ff5aa, v92 :: v_dual_mul_f32 v121, 0x3f5ff5aa, v103
	v_add_f32_e32 v86, v86, v110
	v_add_f32_e32 v90, v209, v90
	v_mul_f32_e32 v117, 0x3d64c772, v102
	v_mul_f32_e32 v164, 0xbf08b237, v211
	v_add_f32_e32 v170, v80, v115
	v_sub_f32_e32 v80, v80, v115
	v_add_f32_e32 v171, v128, v169
	v_dual_sub_f32 v115, v128, v169 :: v_dual_add_f32 v128, v81, v114
	v_sub_f32_e32 v81, v81, v114
	v_add_f32_e32 v169, v130, v167
	v_dual_mul_f32 v129, 0x3d64c772, v109 :: v_dual_sub_f32 v114, v130, v167
	v_add_f32_e32 v167, v163, v165
	v_mul_f32_e32 v131, 0xbf08b237, v210
	v_dual_mul_f32 v91, 0x3f4a47b2, v91 :: v_dual_add_f32 v130, v112, v113
	v_dual_mul_f32 v107, 0x3f4a47b2, v107 :: v_dual_sub_f32 v112, v113, v112
	v_dual_add_f32 v111, v111, v205 :: v_dual_fmamk_f32 v102, v102, 0x3d64c772, v95
	v_sub_f32_e32 v113, v165, v163
	v_fma_f32 v116, 0x3f3bfb3b, v172, -v116
	v_fmamk_f32 v163, v96, 0x3eae86e6, v118
	v_fmamk_f32 v165, v100, 0x3eae86e6, v119
	v_fma_f32 v118, 0x3f5ff5aa, v92, -v118
	v_fma_f32 v92, 0x3f5ff5aa, v103, -v119
	;; [unrolled: 1-line block ×5, first 2 shown]
	v_fmamk_f32 v121, v98, 0x3eae86e6, v164
	v_fma_f32 v129, 0x3f5ff5aa, v94, -v164
	v_fma_f32 v164, 0xbeae86e6, v98, -v168
	v_sub_f32_e32 v168, v171, v167
	v_fmamk_f32 v120, v97, 0x3eae86e6, v131
	v_dual_mul_f32 v127, 0x3d64c772, v108 :: v_dual_add_f32 v94, v169, v171
	v_add_f32_e32 v89, v208, v89
	v_dual_fmamk_f32 v103, v108, 0x3d64c772, v106 :: v_dual_fmamk_f32 v108, v109, 0x3d64c772, v107
	s_delay_alu instid0(VALU_DEP_3)
	v_fma_f32 v109, 0x3f3bfb3b, v206, -v127
	v_fma_f32 v127, 0x3f5ff5aa, v93, -v131
	;; [unrolled: 1-line block ×3, first 2 shown]
	v_dual_add_f32 v93, v128, v170 :: v_dual_fmac_f32 v118, 0x3ee1c552, v88
	v_dual_sub_f32 v97, v128, v170 :: v_dual_fmac_f32 v92, 0x3ee1c552, v99
	v_dual_sub_f32 v128, v130, v128 :: v_dual_add_f32 v85, v85, v105
	v_fmamk_f32 v101, v101, 0x3d64c772, v91
	v_fma_f32 v117, 0x3f3bfb3b, v173, -v117
	v_fma_f32 v91, 0xbf3bfb3b, v172, -v91
	;; [unrolled: 1-line block ×3, first 2 shown]
	v_sub_f32_e32 v166, v170, v130
	v_add_f32_e32 v170, v112, v81
	v_sub_f32_e32 v98, v169, v171
	v_dual_sub_f32 v172, v112, v81 :: v_dual_add_f32 v171, v113, v114
	v_dual_fmac_f32 v100, 0x3ee1c552, v99 :: v_dual_sub_f32 v173, v113, v114
	v_sub_f32_e32 v112, v80, v112
	v_dual_sub_f32 v174, v81, v80 :: v_dual_sub_f32 v169, v167, v169
	v_fmac_f32_e32 v96, 0x3ee1c552, v88
	v_sub_f32_e32 v114, v114, v115
	v_add_f32_e32 v87, v87, v111
	v_dual_fmac_f32 v163, 0x3ee1c552, v88 :: v_dual_fmac_f32 v120, 0x3ee1c552, v89
	v_fmamk_f32 v88, v110, 0xbf955555, v86
	v_dual_fmamk_f32 v81, v104, 0xbf955555, v84 :: v_dual_fmamk_f32 v104, v105, 0xbf955555, v85
	v_fma_f32 v106, 0xbf3bfb3b, v206, -v106
	v_dual_sub_f32 v113, v115, v113 :: v_dual_fmac_f32 v164, 0x3ee1c552, v90
	v_add_f32_e32 v110, v130, v93
	v_add_f32_e32 v130, v170, v80
	;; [unrolled: 1-line block ×5, first 2 shown]
	v_dual_add_f32 v104, v109, v88 :: v_dual_fmac_f32 v165, 0x3ee1c552, v99
	v_add_f32_e32 v170, v91, v81
	v_dual_fmamk_f32 v99, v111, 0xbf955555, v87 :: v_dual_add_f32 v106, v106, v88
	v_dual_add_f32 v111, v167, v94 :: v_dual_mul_f32 v94, 0x3d64c772, v169
	v_mul_f32_e32 v105, 0xbf08b237, v172
	v_add_f32_e32 v101, v101, v81
	v_fmac_f32_e32 v127, 0x3ee1c552, v89
	v_dual_fmac_f32 v131, 0x3ee1c552, v89 :: v_dual_add_f32 v80, v82, v110
	v_dual_add_f32 v115, v171, v115 :: v_dual_add_f32 v116, v116, v81
	v_dual_fmac_f32 v121, 0x3ee1c552, v90 :: v_dual_add_f32 v172, v108, v99
	v_mul_f32_e32 v89, 0x3f4a47b2, v166
	v_mul_f32_e32 v166, 0xbf08b237, v173
	;; [unrolled: 1-line block ×3, first 2 shown]
	v_add_f32_e32 v171, v103, v88
	v_fma_f32 v173, 0x3f3bfb3b, v98, -v94
	v_add_f32_e32 v88, v100, v170
	v_fma_f32 v205, 0x3f5ff5aa, v174, -v105
	v_dual_sub_f32 v94, v170, v100 :: v_dual_fmac_f32 v129, 0x3ee1c552, v90
	v_add_f32_e32 v82, v165, v101
	v_mul_f32_e32 v90, 0x3f4a47b2, v168
	v_mul_f32_e32 v93, 0x3d64c772, v128
	v_dual_mul_f32 v168, 0x3f5ff5aa, v114 :: v_dual_add_f32 v81, v83, v111
	v_fma_f32 v107, 0xbf3bfb3b, v207, -v107
	v_dual_add_f32 v108, v119, v99 :: v_dual_fmamk_f32 v119, v128, 0x3d64c772, v89
	v_fmamk_f32 v128, v169, 0x3d64c772, v90
	v_fma_f32 v169, 0x3f3bfb3b, v97, -v93
	v_fma_f32 v176, 0xbf3bfb3b, v98, -v90
	v_dual_add_f32 v98, v121, v171 :: v_dual_fmamk_f32 v203, v112, 0x3eae86e6, v105
	v_fmamk_f32 v204, v113, 0x3eae86e6, v166
	v_fma_f32 v114, 0x3f5ff5aa, v114, -v166
	v_dual_sub_f32 v83, v102, v163 :: v_dual_sub_f32 v90, v116, v92
	v_fma_f32 v175, 0xbf3bfb3b, v97, -v89
	v_add_f32_e32 v92, v92, v116
	v_fma_f32 v112, 0xbeae86e6, v112, -v167
	v_dual_add_f32 v97, v163, v102 :: v_dual_fmac_f32 v114, 0x3ee1c552, v115
	v_dual_sub_f32 v102, v104, v129 :: v_dual_fmac_f32 v205, 0x3ee1c552, v130
	v_fmamk_f32 v111, v111, 0xbf955555, v81
	v_dual_sub_f32 v89, v95, v96 :: v_dual_fmamk_f32 v110, v110, 0xbf955555, v80
	v_dual_add_f32 v100, v164, v106 :: v_dual_add_f32 v91, v118, v117
	v_dual_fmac_f32 v204, 0x3ee1c552, v115 :: v_dual_sub_f32 v93, v117, v118
	v_dual_sub_f32 v106, v106, v164 :: v_dual_add_f32 v95, v96, v95
	v_dual_fmac_f32 v112, 0x3ee1c552, v130 :: v_dual_add_f32 v107, v107, v99
	v_sub_f32_e32 v96, v101, v165
	v_fma_f32 v113, 0xbeae86e6, v113, -v168
	v_add_f32_e32 v103, v127, v108
	v_dual_sub_f32 v105, v108, v127 :: v_dual_sub_f32 v108, v171, v121
	ds_store_2addr_b64 v202, v[84:85], v[82:83] offset1:54
	ds_store_2addr_b64 v202, v[88:89], v[90:91] offset0:108 offset1:162
	ds_store_2addr_b64 v125, v[92:93], v[94:95] offset0:88 offset1:142
	ds_store_b64 v202, v[96:97] offset:2592
	v_add_f32_e32 v89, v173, v111
	v_dual_sub_f32 v99, v172, v120 :: v_dual_add_f32 v82, v119, v110
	v_dual_sub_f32 v101, v107, v131 :: v_dual_add_f32 v84, v169, v110
	v_dual_add_f32 v104, v129, v104 :: v_dual_fmac_f32 v113, 0x3ee1c552, v115
	s_delay_alu instid0(VALU_DEP_4) | instskip(SKIP_4) | instid1(VALU_DEP_3)
	v_dual_add_f32 v85, v175, v110 :: v_dual_sub_f32 v168, v89, v205
	v_add_f32_e32 v83, v128, v111
	v_dual_add_f32 v88, v176, v111 :: v_dual_fmac_f32 v203, 0x3ee1c552, v130
	v_add_f32_e32 v107, v131, v107
	v_add_f32_e32 v173, v204, v82
	v_dual_add_f32 v163, v113, v85 :: v_dual_sub_f32 v164, v88, v112
	v_sub_f32_e32 v165, v84, v114
	v_add_f32_e32 v167, v114, v84
	v_dual_sub_f32 v169, v85, v113 :: v_dual_add_f32 v170, v112, v88
	v_dual_add_f32 v109, v120, v172 :: v_dual_sub_f32 v174, v83, v203
	v_dual_sub_f32 v171, v82, v204 :: v_dual_add_f32 v172, v203, v83
	v_dual_add_f32 v166, v205, v89 :: v_dual_and_b32 v203, 0xffff, v124
	ds_store_2addr_b64 v201, v[86:87], v[98:99] offset1:54
	ds_store_2addr_b64 v201, v[100:101], v[102:103] offset0:108 offset1:162
	ds_store_2addr_b64 v126, v[104:105], v[106:107] offset0:88 offset1:142
	ds_store_b64 v201, v[108:109] offset:2592
	s_and_saveexec_b32 s1, s0
	s_cbranch_execz .LBB0_11
; %bb.10:
	v_lshlrev_b32_e32 v82, 3, v203
	s_delay_alu instid0(VALU_DEP_1)
	v_add_nc_u32_e32 v83, 0x2c00, v82
	v_add_nc_u32_e32 v84, 0x3000, v82
	ds_store_2addr_b64 v83, v[80:81], v[173:174] offset0:104 offset1:158
	ds_store_2addr_b64 v84, v[163:164], v[165:166] offset0:84 offset1:138
	;; [unrolled: 1-line block ×3, first 2 shown]
	ds_store_b64 v82, v[171:172] offset:14688
.LBB0_11:
	s_wait_alu 0xfffe
	s_or_b32 exec_lo, exec_lo, s1
	v_add_nc_u32_e32 v84, 0x1400, v177
	global_wb scope:SCOPE_SE
	s_wait_dscnt 0x0
	s_barrier_signal -1
	s_barrier_wait -1
	global_inv scope:SCOPE_SE
	ds_load_2addr_b64 v[84:87], v84 offset0:116 offset1:242
	v_lshlrev_b32_e32 v88, 5, v178
	v_lshlrev_b32_e32 v89, 5, v123
	v_add_nc_u32_e32 v109, 0x2c00, v177
	v_add_nc_u32_e32 v108, 0xc00, v177
	s_clause 0x1
	global_load_b128 v[80:83], v88, s[2:3] offset:3008
	global_load_b128 v[96:99], v88, s[2:3] offset:3024
	s_wait_loadcnt_dscnt 0x100
	v_dual_mul_f32 v88, v85, v83 :: v_dual_add_nc_u32 v111, 0x1c00, v177
	v_mul_f32_e32 v129, v84, v83
	s_delay_alu instid0(VALU_DEP_2)
	v_fma_f32 v130, v84, v82, -v88
	s_clause 0x1
	global_load_b128 v[92:95], v89, s[2:3] offset:3008
	global_load_b128 v[88:91], v89, s[2:3] offset:3024
	v_dual_fmac_f32 v129, v85, v82 :: v_dual_add_nc_u32 v112, 0x2400, v177
	ds_load_2addr_b64 v[102:105], v108 offset0:120 offset1:246
	s_wait_loadcnt 0x1
	v_mul_f32_e32 v84, v87, v95
	v_mul_f32_e32 v119, v86, v95
	s_delay_alu instid0(VALU_DEP_2) | instskip(NEXT) | instid1(VALU_DEP_2)
	v_fma_f32 v120, v86, v94, -v84
	v_fmac_f32_e32 v119, v87, v94
	ds_load_2addr_b64 v[84:87], v109 offset0:104 offset1:230
	s_wait_dscnt 0x0
	v_mul_f32_e32 v175, v84, v99
	s_wait_loadcnt 0x0
	v_mul_f32_e32 v121, v86, v91
	v_mul_f32_e32 v100, v85, v99
	s_delay_alu instid0(VALU_DEP_3) | instskip(NEXT) | instid1(VALU_DEP_3)
	v_fmac_f32_e32 v175, v85, v98
	v_fmac_f32_e32 v121, v87, v90
	s_delay_alu instid0(VALU_DEP_3) | instskip(SKIP_2) | instid1(VALU_DEP_2)
	v_fma_f32 v131, v84, v98, -v100
	v_mul_f32_e32 v84, v87, v91
	v_mul_f32_e32 v85, v103, v93
	v_fma_f32 v123, v86, v90, -v84
	v_lshlrev_b32_e32 v84, 5, v122
	v_mul_f32_e32 v122, v102, v93
	s_delay_alu instid0(VALU_DEP_4) | instskip(NEXT) | instid1(VALU_DEP_2)
	v_fma_f32 v124, v102, v92, -v85
	v_fmac_f32_e32 v122, v103, v92
	s_clause 0x1
	global_load_b128 v[100:103], v84, s[2:3] offset:3008
	global_load_b128 v[84:87], v84, s[2:3] offset:3024
	s_add_nc_u64 s[2:3], s[16:17], 0x3b10
	s_wait_loadcnt 0x1
	v_mul_f32_e32 v106, v105, v101
	v_mul_f32_e32 v113, v104, v101
	s_delay_alu instid0(VALU_DEP_2) | instskip(NEXT) | instid1(VALU_DEP_2)
	v_fma_f32 v114, v104, v100, -v106
	v_fmac_f32_e32 v113, v105, v100
	ds_load_2addr_b64 v[104:107], v111 offset0:112 offset1:238
	s_wait_dscnt 0x0
	v_dual_mul_f32 v110, v107, v97 :: v_dual_mul_f32 v115, v104, v103
	v_mul_f32_e32 v204, v106, v97
	s_delay_alu instid0(VALU_DEP_2) | instskip(NEXT) | instid1(VALU_DEP_3)
	v_fma_f32 v176, v106, v96, -v110
	v_fmac_f32_e32 v115, v105, v102
	v_mul_f32_e32 v106, v105, v103
	s_delay_alu instid0(VALU_DEP_4) | instskip(NEXT) | instid1(VALU_DEP_4)
	v_fmac_f32_e32 v204, v107, v96
	v_add_f32_e32 v210, v130, v176
	v_sub_f32_e32 v211, v130, v176
	s_delay_alu instid0(VALU_DEP_4)
	v_fma_f32 v116, v104, v102, -v106
	ds_load_2addr_b64 v[104:107], v112 offset0:108 offset1:234
	v_sub_f32_e32 v218, v175, v204
	v_sub_f32_e32 v215, v129, v204
	s_wait_loadcnt_dscnt 0x0
	v_mul_f32_e32 v117, v106, v85
	v_mul_f32_e32 v110, v105, v89
	;; [unrolled: 1-line block ×3, first 2 shown]
	s_delay_alu instid0(VALU_DEP_3) | instskip(NEXT) | instid1(VALU_DEP_3)
	v_fmac_f32_e32 v117, v107, v84
	v_fma_f32 v206, v104, v88, -v110
	v_mul_f32_e32 v104, v107, v85
	s_delay_alu instid0(VALU_DEP_4) | instskip(NEXT) | instid1(VALU_DEP_2)
	v_dual_fmac_f32 v207, v105, v88 :: v_dual_add_nc_u32 v110, 0x400, v177
	v_fma_f32 v118, v106, v84, -v104
	ds_load_2addr_b64 v[104:107], v110 offset0:124 offset1:250
	s_wait_dscnt 0x0
	v_mul_f32_e32 v125, v107, v81
	v_mul_f32_e32 v208, v106, v81
	s_delay_alu instid0(VALU_DEP_2) | instskip(SKIP_3) | instid1(VALU_DEP_2)
	v_fma_f32 v205, v106, v80, -v125
	ds_load_2addr_b64 v[125:128], v177 offset1:126
	v_dual_fmac_f32 v208, v107, v80 :: v_dual_sub_f32 v209, v205, v130
	v_dual_sub_f32 v212, v130, v205 :: v_dual_sub_f32 v213, v205, v131
	v_sub_f32_e32 v214, v208, v129
	v_dual_sub_f32 v216, v129, v208 :: v_dual_sub_f32 v217, v208, v175
	s_wait_dscnt 0x0
	v_dual_add_f32 v106, v125, v205 :: v_dual_add_f32 v107, v126, v208
	s_delay_alu instid0(VALU_DEP_1) | instskip(NEXT) | instid1(VALU_DEP_2)
	v_dual_add_f32 v205, v205, v131 :: v_dual_add_f32 v106, v106, v130
	v_add_f32_e32 v107, v107, v129
	v_sub_f32_e32 v130, v131, v176
	v_add_f32_e32 v208, v208, v175
	s_delay_alu instid0(VALU_DEP_4) | instskip(NEXT) | instid1(VALU_DEP_4)
	v_add_f32_e32 v106, v106, v176
	v_add_f32_e32 v107, v107, v204
	s_delay_alu instid0(VALU_DEP_4) | instskip(NEXT) | instid1(VALU_DEP_3)
	v_dual_add_f32 v209, v209, v130 :: v_dual_sub_f32 v176, v176, v131
	v_add_f32_e32 v106, v106, v131
	s_delay_alu instid0(VALU_DEP_3) | instskip(SKIP_3) | instid1(VALU_DEP_3)
	v_add_f32_e32 v107, v107, v175
	v_add_f32_e32 v131, v129, v204
	v_fma_f32 v129, -0.5, v210, v125
	v_fma_f32 v125, -0.5, v205, v125
	;; [unrolled: 1-line block ×3, first 2 shown]
	v_sub_f32_e32 v175, v204, v175
	v_fma_f32 v126, -0.5, v208, v126
	v_dual_add_f32 v131, v214, v218 :: v_dual_add_f32 v208, v212, v176
	s_delay_alu instid0(VALU_DEP_4) | instskip(NEXT) | instid1(VALU_DEP_4)
	v_fmamk_f32 v176, v213, 0xbf737871, v130
	v_dual_add_f32 v210, v216, v175 :: v_dual_fmamk_f32 v175, v217, 0x3f737871, v129
	v_fmamk_f32 v204, v215, 0xbf737871, v125
	v_fmamk_f32 v205, v211, 0x3f737871, v126
	v_dual_fmac_f32 v125, 0x3f737871, v215 :: v_dual_fmac_f32 v130, 0x3f737871, v213
	v_dual_fmac_f32 v126, 0xbf737871, v211 :: v_dual_fmac_f32 v129, 0xbf737871, v217
	s_delay_alu instid0(VALU_DEP_4) | instskip(NEXT) | instid1(VALU_DEP_4)
	v_dual_fmac_f32 v175, 0x3f167918, v215 :: v_dual_fmac_f32 v204, 0x3f167918, v217
	v_dual_fmac_f32 v176, 0xbf167918, v211 :: v_dual_fmac_f32 v205, 0xbf167918, v213
	s_delay_alu instid0(VALU_DEP_4) | instskip(NEXT) | instid1(VALU_DEP_4)
	v_fmac_f32_e32 v125, 0xbf167918, v217
	v_fmac_f32_e32 v126, 0x3f167918, v213
	;; [unrolled: 1-line block ×4, first 2 shown]
	v_dual_fmac_f32 v175, 0x3e9e377a, v209 :: v_dual_fmac_f32 v176, 0x3e9e377a, v131
	v_dual_fmac_f32 v204, 0x3e9e377a, v208 :: v_dual_fmac_f32 v205, 0x3e9e377a, v210
	;; [unrolled: 1-line block ×3, first 2 shown]
	s_delay_alu instid0(VALU_DEP_4)
	v_dual_fmac_f32 v129, 0x3e9e377a, v209 :: v_dual_fmac_f32 v130, 0x3e9e377a, v131
	ds_store_b64 v177, v[175:176] offset:3024
	ds_store_b64 v177, v[204:205] offset:6048
	;; [unrolled: 1-line block ×4, first 2 shown]
	v_dual_add_f32 v125, v127, v124 :: v_dual_add_f32 v126, v128, v122
	ds_load_b64 v[129:130], v177 offset:14112
	v_sub_f32_e32 v176, v119, v122
	v_dual_sub_f32 v204, v119, v207 :: v_dual_add_f32 v125, v125, v120
	v_add_f32_e32 v126, v126, v119
	v_sub_f32_e32 v131, v206, v123
	v_add_f32_e32 v175, v119, v207
	v_sub_f32_e32 v119, v122, v119
	s_delay_alu instid0(VALU_DEP_4) | instskip(SKIP_1) | instid1(VALU_DEP_2)
	v_dual_add_f32 v125, v125, v206 :: v_dual_add_f32 v126, v126, v207
	v_add_f32_e32 v205, v122, v121
	v_dual_sub_f32 v122, v122, v121 :: v_dual_add_f32 v125, v125, v123
	s_delay_alu instid0(VALU_DEP_3) | instskip(SKIP_4) | instid1(VALU_DEP_2)
	v_add_f32_e32 v126, v126, v121
	ds_store_2addr_b64 v177, v[106:107], v[125:126] offset1:126
	s_wait_dscnt 0x1
	v_mul_f32_e32 v106, v130, v87
	v_dual_mul_f32 v126, v129, v87 :: v_dual_sub_f32 v107, v120, v124
	v_fma_f32 v125, v129, v86, -v106
	s_delay_alu instid0(VALU_DEP_2) | instskip(SKIP_4) | instid1(VALU_DEP_4)
	v_fmac_f32_e32 v126, v130, v86
	v_add_f32_e32 v106, v120, v206
	v_add_f32_e32 v130, v124, v123
	v_sub_f32_e32 v129, v120, v206
	v_sub_f32_e32 v120, v124, v120
	v_fma_f32 v106, -0.5, v106, v127
	s_delay_alu instid0(VALU_DEP_4) | instskip(SKIP_4) | instid1(VALU_DEP_4)
	v_fma_f32 v127, -0.5, v130, v127
	v_dual_sub_f32 v124, v124, v123 :: v_dual_sub_f32 v123, v123, v206
	v_dual_sub_f32 v206, v207, v121 :: v_dual_sub_f32 v121, v121, v207
	v_add_f32_e32 v130, v107, v131
	v_fma_f32 v107, -0.5, v175, v128
	v_dual_fmac_f32 v128, -0.5, v205 :: v_dual_add_f32 v205, v120, v123
	s_delay_alu instid0(VALU_DEP_4)
	v_dual_add_f32 v131, v176, v206 :: v_dual_add_f32 v206, v119, v121
	v_fmamk_f32 v121, v122, 0x3f737871, v106
	v_fmamk_f32 v119, v204, 0xbf737871, v127
	v_fmac_f32_e32 v127, 0x3f737871, v204
	v_add_f32_e32 v123, v104, v114
	v_fmac_f32_e32 v106, 0xbf737871, v122
	v_fmac_f32_e32 v121, 0x3f167918, v204
	s_delay_alu instid0(VALU_DEP_4) | instskip(NEXT) | instid1(VALU_DEP_4)
	v_fmac_f32_e32 v127, 0xbf167918, v122
	v_dual_add_f32 v123, v123, v116 :: v_dual_fmamk_f32 v120, v129, 0x3f737871, v128
	v_fmac_f32_e32 v128, 0xbf737871, v129
	v_fmac_f32_e32 v119, 0x3f167918, v122
	s_delay_alu instid0(VALU_DEP_3) | instskip(SKIP_1) | instid1(VALU_DEP_4)
	v_dual_fmamk_f32 v122, v124, 0xbf737871, v107 :: v_dual_add_f32 v123, v123, v118
	v_fmac_f32_e32 v107, 0x3f737871, v124
	v_fmac_f32_e32 v128, 0x3f167918, v124
	;; [unrolled: 1-line block ×3, first 2 shown]
	v_dual_add_f32 v124, v105, v113 :: v_dual_fmac_f32 v127, 0x3e9e377a, v130
	v_fmac_f32_e32 v106, 0xbf167918, v204
	v_fmac_f32_e32 v107, 0x3f167918, v129
	s_delay_alu instid0(VALU_DEP_3) | instskip(SKIP_1) | instid1(VALU_DEP_3)
	v_dual_fmac_f32 v119, 0x3e9e377a, v130 :: v_dual_add_f32 v124, v124, v115
	v_fmac_f32_e32 v128, 0x3e9e377a, v131
	v_dual_fmac_f32 v106, 0x3e9e377a, v205 :: v_dual_fmac_f32 v107, 0x3e9e377a, v206
	v_add_f32_e32 v123, v123, v125
	s_delay_alu instid0(VALU_DEP_4) | instskip(SKIP_1) | instid1(VALU_DEP_2)
	v_add_f32_e32 v124, v124, v117
	v_dual_fmac_f32 v120, 0x3e9e377a, v131 :: v_dual_fmac_f32 v121, 0x3e9e377a, v205
	v_add_f32_e32 v124, v124, v126
	ds_store_b64 v177, v[127:128] offset:10080
	ds_store_b64 v177, v[106:107] offset:13104
	ds_store_b64 v177, v[119:120] offset:7056
	ds_store_b64 v177, v[123:124] offset:2016
	v_dual_sub_f32 v106, v114, v116 :: v_dual_sub_f32 v107, v125, v118
	v_dual_sub_f32 v124, v114, v125 :: v_dual_sub_f32 v123, v113, v126
	;; [unrolled: 1-line block ×3, first 2 shown]
	s_delay_alu instid0(VALU_DEP_3) | instskip(SKIP_1) | instid1(VALU_DEP_2)
	v_dual_add_f32 v119, v106, v107 :: v_dual_add_f32 v106, v116, v118
	v_add_f32_e32 v107, v115, v117
	v_fma_f32 v175, -0.5, v106, v104
	s_delay_alu instid0(VALU_DEP_2) | instskip(SKIP_2) | instid1(VALU_DEP_2)
	v_fma_f32 v176, -0.5, v107, v105
	v_dual_sub_f32 v106, v113, v115 :: v_dual_sub_f32 v107, v126, v117
	v_sub_f32_e32 v115, v115, v113
	v_dual_add_f32 v113, v113, v126 :: v_dual_add_f32 v120, v106, v107
	s_delay_alu instid0(VALU_DEP_4) | instskip(SKIP_2) | instid1(VALU_DEP_4)
	v_fmamk_f32 v107, v124, 0xbf737871, v176
	v_fmac_f32_e32 v122, 0xbf167918, v129
	v_fmamk_f32 v106, v123, 0x3f737871, v175
	v_fmac_f32_e32 v105, -0.5, v113
	v_fmac_f32_e32 v175, 0xbf737871, v123
	v_fmac_f32_e32 v107, 0xbf167918, v128
	;; [unrolled: 1-line block ×4, first 2 shown]
	s_delay_alu instid0(VALU_DEP_4) | instskip(NEXT) | instid1(VALU_DEP_4)
	v_fmac_f32_e32 v175, 0xbf167918, v127
	v_fmac_f32_e32 v107, 0x3e9e377a, v120
	;; [unrolled: 1-line block ×3, first 2 shown]
	s_delay_alu instid0(VALU_DEP_4) | instskip(NEXT) | instid1(VALU_DEP_2)
	v_fmac_f32_e32 v106, 0x3e9e377a, v119
	v_fmac_f32_e32 v176, 0x3f167918, v128
	ds_store_2addr_b64 v108, v[121:122], v[106:107] offset0:120 offset1:246
	v_dual_add_f32 v107, v114, v125 :: v_dual_sub_f32 v106, v116, v114
	v_sub_f32_e32 v114, v118, v125
	v_dual_sub_f32 v116, v117, v126 :: v_dual_fmac_f32 v175, 0x3e9e377a, v119
	v_fmac_f32_e32 v176, 0x3e9e377a, v120
	s_delay_alu instid0(VALU_DEP_4) | instskip(SKIP_3) | instid1(VALU_DEP_4)
	v_fma_f32 v104, -0.5, v107, v104
	v_fmamk_f32 v107, v128, 0x3f737871, v105
	v_fmac_f32_e32 v105, 0xbf737871, v128
	v_dual_add_f32 v113, v106, v114 :: v_dual_add_f32 v114, v115, v116
	v_fmamk_f32 v106, v127, 0xbf737871, v104
	v_fmac_f32_e32 v104, 0x3f737871, v127
	s_delay_alu instid0(VALU_DEP_4) | instskip(SKIP_1) | instid1(VALU_DEP_4)
	v_fmac_f32_e32 v105, 0x3f167918, v124
	v_fmac_f32_e32 v107, 0xbf167918, v124
	;; [unrolled: 1-line block ×3, first 2 shown]
	s_delay_alu instid0(VALU_DEP_4) | instskip(NEXT) | instid1(VALU_DEP_4)
	v_fmac_f32_e32 v104, 0xbf167918, v123
	v_fmac_f32_e32 v105, 0x3e9e377a, v114
	s_delay_alu instid0(VALU_DEP_3) | instskip(NEXT) | instid1(VALU_DEP_3)
	v_dual_fmac_f32 v107, 0x3e9e377a, v114 :: v_dual_fmac_f32 v106, 0x3e9e377a, v113
	v_fmac_f32_e32 v104, 0x3e9e377a, v113
	ds_store_b64 v177, v[104:105] offset:11088
	ds_store_b64 v177, v[106:107] offset:8064
	;; [unrolled: 1-line block ×3, first 2 shown]
	global_wb scope:SCOPE_SE
	s_wait_dscnt 0x0
	s_barrier_signal -1
	s_barrier_wait -1
	global_inv scope:SCOPE_SE
	s_clause 0x3
	global_load_b64 v[113:114], v[132:133], off offset:15120
	global_load_b64 v[115:116], v177, s[2:3] offset:1008
	global_load_b64 v[117:118], v177, s[2:3] offset:2016
	;; [unrolled: 1-line block ×3, first 2 shown]
	ds_load_2addr_b64 v[104:107], v177 offset1:126
	s_wait_loadcnt_dscnt 0x300
	v_mul_f32_e32 v121, v105, v114
	v_mul_f32_e32 v122, v104, v114
	s_wait_loadcnt 0x2
	v_mul_f32_e32 v124, v106, v116
	s_delay_alu instid0(VALU_DEP_3) | instskip(NEXT) | instid1(VALU_DEP_3)
	v_fma_f32 v121, v104, v113, -v121
	v_fmac_f32_e32 v122, v105, v113
	v_dual_mul_f32 v104, v107, v116 :: v_dual_add_nc_u32 v113, 0x2000, v177
	s_delay_alu instid0(VALU_DEP_4)
	v_fmac_f32_e32 v124, v107, v115
	ds_store_b64 v177, v[121:122]
	v_fma_f32 v123, v106, v115, -v104
	s_clause 0x3
	global_load_b64 v[114:115], v177, s[2:3] offset:8568
	global_load_b64 v[121:122], v177, s[2:3] offset:9576
	;; [unrolled: 1-line block ×4, first 2 shown]
	ds_load_2addr_b64 v[104:107], v113 offset0:47 offset1:173
	s_wait_loadcnt_dscnt 0x300
	v_mul_f32_e32 v116, v105, v115
	s_wait_loadcnt 0x2
	v_dual_mul_f32 v130, v104, v115 :: v_dual_mul_f32 v115, v106, v122
	s_delay_alu instid0(VALU_DEP_2) | instskip(SKIP_1) | instid1(VALU_DEP_3)
	v_fma_f32 v129, v104, v114, -v116
	v_mul_f32_e32 v104, v107, v122
	v_dual_fmac_f32 v130, v105, v114 :: v_dual_fmac_f32 v115, v107, v121
	s_delay_alu instid0(VALU_DEP_2)
	v_fma_f32 v114, v106, v121, -v104
	ds_load_2addr_b64 v[104:107], v110 offset0:124 offset1:250
	s_wait_dscnt 0x0
	v_mul_f32_e32 v116, v105, v118
	v_mul_f32_e32 v205, v104, v118
	;; [unrolled: 1-line block ×3, first 2 shown]
	s_delay_alu instid0(VALU_DEP_3) | instskip(SKIP_4) | instid1(VALU_DEP_4)
	v_fma_f32 v204, v104, v117, -v116
	v_mul_f32_e32 v104, v107, v120
	v_add_nc_u32_e32 v116, 0x2800, v177
	v_fmac_f32_e32 v205, v105, v117
	v_fmac_f32_e32 v207, v107, v119
	v_fma_f32 v206, v106, v119, -v104
	ds_load_2addr_b64 v[104:107], v116 offset0:43 offset1:169
	s_wait_loadcnt_dscnt 0x100
	v_mul_f32_e32 v117, v105, v126
	v_mul_f32_e32 v209, v104, v126
	s_delay_alu instid0(VALU_DEP_2)
	v_fma_f32 v208, v104, v125, -v117
	s_clause 0x2
	global_load_b64 v[117:118], v177, s[2:3] offset:4032
	global_load_b64 v[119:120], v177, s[2:3] offset:5040
	;; [unrolled: 1-line block ×3, first 2 shown]
	s_wait_loadcnt 0x3
	v_mul_f32_e32 v104, v107, v128
	v_mul_f32_e32 v126, v106, v128
	global_load_b64 v[210:211], v177, s[2:3] offset:7560
	v_fmac_f32_e32 v209, v105, v125
	v_fma_f32 v125, v106, v127, -v104
	v_fmac_f32_e32 v126, v107, v127
	ds_load_2addr_b64 v[104:107], v108 offset0:120 offset1:246
	s_wait_loadcnt_dscnt 0x300
	v_mul_f32_e32 v127, v105, v118
	v_mul_f32_e32 v128, v104, v118
	s_delay_alu instid0(VALU_DEP_2) | instskip(SKIP_2) | instid1(VALU_DEP_3)
	v_fma_f32 v127, v104, v117, -v127
	s_wait_loadcnt 0x2
	v_mul_f32_e32 v104, v107, v120
	v_fmac_f32_e32 v128, v105, v117
	s_delay_alu instid0(VALU_DEP_2) | instskip(SKIP_2) | instid1(VALU_DEP_2)
	v_fma_f32 v105, v106, v119, -v104
	v_mul_f32_e32 v106, v106, v120
	v_add_nc_u32_e32 v104, 0x1600, v177
	v_fmac_f32_e32 v106, v107, v119
	ds_load_2addr_b64 v[117:120], v104 offset0:52 offset1:241
	s_clause 0x1
	global_load_b64 v[214:215], v177, s[2:3] offset:12600
	global_load_b64 v[216:217], v177, s[2:3] offset:13608
	s_wait_loadcnt_dscnt 0x200
	v_mul_f32_e32 v107, v120, v211
	v_mul_f32_e32 v213, v119, v211
	v_mul_f32_e32 v211, v117, v122
	s_delay_alu instid0(VALU_DEP_3) | instskip(SKIP_1) | instid1(VALU_DEP_4)
	v_fma_f32 v212, v119, v210, -v107
	v_mul_f32_e32 v107, v118, v122
	v_fmac_f32_e32 v213, v120, v210
	s_delay_alu instid0(VALU_DEP_4) | instskip(NEXT) | instid1(VALU_DEP_3)
	v_fmac_f32_e32 v211, v118, v121
	v_fma_f32 v210, v117, v121, -v107
	v_add_nc_u32_e32 v117, 0x3000, v177
	ds_load_2addr_b64 v[118:121], v117 offset0:39 offset1:165
	ds_store_2addr_b64 v111, v[212:213], v[129:130] offset0:49 offset1:175
	ds_store_2addr_b64 v112, v[114:115], v[208:209] offset0:45 offset1:171
	s_wait_loadcnt_dscnt 0x102
	v_mul_f32_e32 v107, v119, v215
	v_mul_f32_e32 v219, v118, v215
	s_delay_alu instid0(VALU_DEP_2) | instskip(SKIP_2) | instid1(VALU_DEP_3)
	v_fma_f32 v218, v118, v214, -v107
	s_wait_loadcnt 0x0
	v_mul_f32_e32 v107, v121, v217
	v_fmac_f32_e32 v219, v119, v214
	v_mul_f32_e32 v119, v120, v217
	s_delay_alu instid0(VALU_DEP_3)
	v_fma_f32 v118, v120, v216, -v107
	v_add_nc_u32_e32 v107, 0x800, v177
	ds_store_2addr_b64 v107, v[206:207], v[127:128] offset0:122 offset1:248
	ds_store_2addr_b64 v109, v[125:126], v[218:219] offset0:41 offset1:167
	v_add_nc_u32_e32 v107, 0x1000, v177
	v_fmac_f32_e32 v119, v121, v216
	ds_store_2addr_b64 v107, v[105:106], v[210:211] offset0:118 offset1:244
	ds_store_2addr_b64 v177, v[123:124], v[204:205] offset0:126 offset1:252
	ds_store_b64 v177, v[118:119] offset:13608
	s_and_saveexec_b32 s1, vcc_lo
	s_cbranch_execz .LBB0_13
; %bb.12:
	s_wait_alu 0xfffe
	v_add_co_u32 v105, s2, s2, v177
	s_wait_alu 0xf1ff
	v_add_co_ci_u32_e64 v106, null, s3, 0, s2
	s_clause 0x1
	global_load_b64 v[111:112], v[105:106], off offset:7056
	global_load_b64 v[105:106], v[105:106], off offset:14616
	ds_load_b64 v[114:115], v177 offset:7056
	ds_load_b64 v[118:119], v177 offset:14616
	s_wait_loadcnt_dscnt 0x101
	v_mul_f32_e32 v109, v115, v112
	s_wait_loadcnt_dscnt 0x0
	v_dual_mul_f32 v107, v114, v112 :: v_dual_mul_f32 v120, v119, v106
	v_mul_f32_e32 v112, v118, v106
	s_delay_alu instid0(VALU_DEP_3) | instskip(NEXT) | instid1(VALU_DEP_3)
	v_fma_f32 v106, v114, v111, -v109
	v_fmac_f32_e32 v107, v115, v111
	s_delay_alu instid0(VALU_DEP_4) | instskip(NEXT) | instid1(VALU_DEP_4)
	v_fma_f32 v111, v118, v105, -v120
	v_fmac_f32_e32 v112, v119, v105
	ds_store_b64 v177, v[106:107] offset:7056
	ds_store_b64 v177, v[111:112] offset:14616
.LBB0_13:
	s_wait_alu 0xfffe
	s_or_b32 exec_lo, exec_lo, s1
	global_wb scope:SCOPE_SE
	s_wait_dscnt 0x0
	s_barrier_signal -1
	s_barrier_wait -1
	global_inv scope:SCOPE_SE
	ds_load_2addr_b64 v[124:127], v177 offset1:126
	ds_load_2addr_b64 v[104:107], v104 offset0:52 offset1:241
	ds_load_2addr_b64 v[128:131], v113 offset0:47 offset1:173
	;; [unrolled: 1-line block ×6, first 2 shown]
	v_add_nc_u32_e32 v204, 0x2760, v185
	v_add_nc_u32_e32 v185, 0x2f40, v185
	s_and_saveexec_b32 s1, vcc_lo
	s_cbranch_execz .LBB0_15
; %bb.14:
	ds_load_b64 v[175:176], v177 offset:7056
	ds_load_b64 v[173:174], v177 offset:14616
.LBB0_15:
	s_wait_alu 0xfffe
	s_or_b32 exec_lo, exec_lo, s1
	s_wait_dscnt 0x5
	v_dual_sub_f32 v207, v124, v106 :: v_dual_sub_f32 v208, v125, v107
	s_wait_dscnt 0x3
	v_dual_sub_f32 v211, v112, v130 :: v_dual_sub_f32 v212, v113, v131
	v_dual_sub_f32 v128, v126, v128 :: v_dual_sub_f32 v129, v127, v129
	s_wait_dscnt 0x2
	v_dual_sub_f32 v215, v114, v120 :: v_dual_sub_f32 v216, v115, v121
	s_wait_dscnt 0x1
	v_dual_sub_f32 v122, v108, v122 :: v_dual_sub_f32 v123, v109, v123
	v_fma_f32 v205, v124, 2.0, -v207
	v_fma_f32 v206, v125, 2.0, -v208
	;; [unrolled: 1-line block ×4, first 2 shown]
	s_wait_dscnt 0x0
	v_dual_sub_f32 v112, v110, v116 :: v_dual_sub_f32 v113, v111, v117
	v_dual_sub_f32 v116, v104, v118 :: v_dual_sub_f32 v117, v105, v119
	v_dual_sub_f32 v106, v175, v173 :: v_dual_sub_f32 v107, v176, v174
	v_fma_f32 v126, v126, 2.0, -v128
	v_fma_f32 v127, v127, 2.0, -v129
	;; [unrolled: 1-line block ×10, first 2 shown]
	global_wb scope:SCOPE_SE
	s_barrier_signal -1
	s_barrier_wait -1
	global_inv scope:SCOPE_SE
	ds_store_b128 v179, v[205:208]
	ds_store_b128 v181, v[126:129]
	;; [unrolled: 1-line block ×7, first 2 shown]
	s_and_saveexec_b32 s1, vcc_lo
	s_cbranch_execz .LBB0_17
; %bb.16:
	v_fma_f32 v105, v176, 2.0, -v107
	v_fma_f32 v104, v175, 2.0, -v106
	ds_store_b128 v180, v[104:107]
.LBB0_17:
	s_wait_alu 0xfffe
	s_or_b32 exec_lo, exec_lo, s1
	v_add_nc_u32_e32 v104, 0xc00, v177
	v_add_nc_u32_e32 v105, 0x2400, v177
	;; [unrolled: 1-line block ×3, first 2 shown]
	global_wb scope:SCOPE_SE
	s_wait_dscnt 0x0
	s_barrier_signal -1
	s_barrier_wait -1
	global_inv scope:SCOPE_SE
	ds_load_2addr_b64 v[112:115], v104 offset0:120 offset1:246
	ds_load_2addr_b64 v[116:119], v105 offset0:108 offset1:234
	;; [unrolled: 1-line block ×3, first 2 shown]
	v_add_nc_u32_e32 v110, 0x400, v177
	v_add_nc_u32_e32 v111, 0x2c00, v177
	s_wait_dscnt 0x2
	v_dual_mul_f32 v185, v1, v115 :: v_dual_add_nc_u32 v108, 0x1c00, v177
	s_wait_dscnt 0x0
	v_dual_mul_f32 v208, v1, v120 :: v_dual_mul_f32 v209, v3, v119
	v_mul_f32_e32 v204, v1, v114
	s_delay_alu instid0(VALU_DEP_3)
	v_fmac_f32_e32 v185, v0, v114
	ds_load_2addr_b64 v[124:127], v177 offset1:126
	ds_load_b64 v[183:184], v177 offset:14112
	ds_load_2addr_b64 v[128:131], v110 offset0:124 offset1:250
	ds_load_2addr_b64 v[173:176], v111 offset0:104 offset1:230
	;; [unrolled: 1-line block ×3, first 2 shown]
	v_dual_mul_f32 v206, v3, v116 :: v_dual_mul_f32 v207, v1, v121
	v_mul_f32_e32 v210, v3, v118
	v_mul_f32_e32 v205, v3, v117
	v_fma_f32 v114, v0, v115, -v204
	v_mul_f32_e32 v204, v1, v123
	v_fma_f32 v115, v2, v117, -v206
	v_fmac_f32_e32 v207, v0, v120
	v_dual_fmac_f32 v205, v2, v116 :: v_dual_mul_f32 v116, v1, v122
	v_fma_f32 v117, v0, v121, -v208
	v_fmac_f32_e32 v209, v2, v118
	v_fmac_f32_e32 v204, v0, v122
	v_fma_f32 v119, v2, v119, -v210
	v_fma_f32 v121, v0, v123, -v116
	global_wb scope:SCOPE_SE
	s_wait_dscnt 0x0
	s_barrier_signal -1
	s_barrier_wait -1
	v_mul_f32_e32 v206, v3, v174
	v_mul_f32_e32 v118, v3, v173
	;; [unrolled: 1-line block ×3, first 2 shown]
	v_sub_f32_e32 v122, v117, v119
	global_inv scope:SCOPE_SE
	v_dual_fmac_f32 v206, v2, v173 :: v_dual_mul_f32 v173, v3, v176
	v_mul_f32_e32 v208, v1, v180
	v_fma_f32 v123, v2, v174, -v118
	v_mul_f32_e32 v118, v3, v175
	s_delay_alu instid0(VALU_DEP_4) | instskip(NEXT) | instid1(VALU_DEP_4)
	v_fmac_f32_e32 v173, v2, v175
	v_dual_fmac_f32 v208, v0, v179 :: v_dual_mul_f32 v179, v1, v182
	v_mul_f32_e32 v1, v1, v181
	v_sub_f32_e32 v120, v185, v205
	s_delay_alu instid0(VALU_DEP_3) | instskip(SKIP_1) | instid1(VALU_DEP_4)
	v_fmac_f32_e32 v179, v0, v181
	v_fma_f32 v174, v0, v180, -v116
	v_fma_f32 v180, v0, v182, -v1
	v_add_f32_e32 v1, v124, v185
	v_fma_f32 v175, v2, v176, -v118
	v_mul_f32_e32 v176, v3, v184
	v_dual_mul_f32 v3, v3, v183 :: v_dual_add_f32 v0, v185, v205
	v_add_f32_e32 v118, v125, v114
	v_add_f32_e32 v182, v129, v121
	s_delay_alu instid0(VALU_DEP_3)
	v_fma_f32 v181, v2, v184, -v3
	v_add_f32_e32 v3, v114, v115
	v_fmac_f32_e32 v176, v2, v183
	v_add_f32_e32 v2, v1, v205
	v_fma_f32 v0, -0.5, v0, v124
	v_dual_add_f32 v124, v128, v204 :: v_dual_sub_f32 v183, v174, v175
	v_fma_f32 v1, -0.5, v3, v125
	v_sub_f32_e32 v116, v114, v115
	v_add_f32_e32 v3, v118, v115
	v_dual_add_f32 v125, v121, v123 :: v_dual_sub_f32 v184, v180, v181
	s_delay_alu instid0(VALU_DEP_4) | instskip(SKIP_3) | instid1(VALU_DEP_3)
	v_fmamk_f32 v115, v120, 0x3f5db3d7, v1
	v_dual_fmac_f32 v1, 0xbf5db3d7, v120 :: v_dual_add_f32 v120, v117, v119
	v_dual_fmamk_f32 v114, v116, 0xbf5db3d7, v0 :: v_dual_add_f32 v117, v127, v117
	v_fmac_f32_e32 v0, 0x3f5db3d7, v116
	v_dual_fmac_f32 v127, -0.5, v120 :: v_dual_sub_f32 v120, v207, v209
	v_add_f32_e32 v116, v207, v209
	v_add_f32_e32 v118, v126, v207
	;; [unrolled: 1-line block ×3, first 2 shown]
	s_delay_alu instid0(VALU_DEP_4) | instskip(SKIP_3) | instid1(VALU_DEP_2)
	v_fmamk_f32 v119, v120, 0x3f5db3d7, v127
	v_fmac_f32_e32 v127, 0xbf5db3d7, v120
	v_fma_f32 v126, -0.5, v116, v126
	v_add_f32_e32 v116, v118, v209
	v_fmamk_f32 v118, v122, 0xbf5db3d7, v126
	v_fmac_f32_e32 v126, 0x3f5db3d7, v122
	v_add_f32_e32 v122, v204, v206
	s_delay_alu instid0(VALU_DEP_1) | instskip(SKIP_4) | instid1(VALU_DEP_2)
	v_fma_f32 v120, -0.5, v122, v128
	v_sub_f32_e32 v128, v121, v123
	v_fma_f32 v121, -0.5, v125, v129
	v_sub_f32_e32 v129, v204, v206
	v_add_f32_e32 v123, v182, v123
	v_dual_add_f32 v182, v130, v208 :: v_dual_fmamk_f32 v125, v129, 0x3f5db3d7, v121
	v_fmac_f32_e32 v121, 0xbf5db3d7, v129
	v_dual_add_f32 v129, v174, v175 :: v_dual_add_f32 v174, v131, v174
	s_delay_alu instid0(VALU_DEP_1) | instskip(NEXT) | instid1(VALU_DEP_2)
	v_dual_add_f32 v122, v124, v206 :: v_dual_fmac_f32 v131, -0.5, v129
	v_dual_add_f32 v129, v174, v175 :: v_dual_fmamk_f32 v124, v128, 0xbf5db3d7, v120
	v_fmac_f32_e32 v120, 0x3f5db3d7, v128
	v_dual_add_f32 v128, v208, v173 :: v_dual_add_f32 v175, v179, v176
	s_delay_alu instid0(VALU_DEP_1) | instskip(SKIP_1) | instid1(VALU_DEP_2)
	v_fma_f32 v130, -0.5, v128, v130
	v_add_f32_e32 v128, v182, v173
	v_dual_sub_f32 v182, v208, v173 :: v_dual_fmamk_f32 v173, v183, 0xbf5db3d7, v130
	v_fmac_f32_e32 v130, 0x3f5db3d7, v183
	s_delay_alu instid0(VALU_DEP_2) | instskip(SKIP_3) | instid1(VALU_DEP_3)
	v_fmamk_f32 v174, v182, 0x3f5db3d7, v131
	v_dual_fmac_f32 v131, 0xbf5db3d7, v182 :: v_dual_add_f32 v182, v180, v181
	v_add_f32_e32 v183, v112, v179
	v_fma_f32 v112, -0.5, v175, v112
	v_dual_add_f32 v180, v113, v180 :: v_dual_fmac_f32 v113, -0.5, v182
	v_sub_f32_e32 v182, v179, v176
	s_delay_alu instid0(VALU_DEP_4) | instskip(NEXT) | instid1(VALU_DEP_4)
	v_add_f32_e32 v175, v183, v176
	v_fmamk_f32 v179, v184, 0xbf5db3d7, v112
	v_fmac_f32_e32 v112, 0x3f5db3d7, v184
	v_add_f32_e32 v176, v180, v181
	v_fmamk_f32 v180, v182, 0x3f5db3d7, v113
	v_fmac_f32_e32 v113, 0xbf5db3d7, v182
	ds_store_2addr_b64 v190, v[2:3], v[114:115] offset1:2
	ds_store_b64 v190, v[0:1] offset:32
	ds_store_2addr_b64 v189, v[116:117], v[118:119] offset1:2
	ds_store_b64 v189, v[126:127] offset:32
	;; [unrolled: 2-line block ×5, first 2 shown]
	global_wb scope:SCOPE_SE
	s_wait_dscnt 0x0
	s_barrier_signal -1
	s_barrier_wait -1
	global_inv scope:SCOPE_SE
	ds_load_2addr_b64 v[0:3], v104 offset0:120 offset1:246
	ds_load_2addr_b64 v[112:115], v105 offset0:108 offset1:234
	;; [unrolled: 1-line block ×3, first 2 shown]
	ds_load_2addr_b64 v[120:123], v177 offset1:126
	ds_load_2addr_b64 v[124:127], v110 offset0:124 offset1:250
	ds_load_2addr_b64 v[128:131], v111 offset0:104 offset1:230
	;; [unrolled: 1-line block ×3, first 2 shown]
	ds_load_b64 v[179:180], v177 offset:14112
	global_wb scope:SCOPE_SE
	s_wait_dscnt 0x0
	s_barrier_signal -1
	s_barrier_wait -1
	global_inv scope:SCOPE_SE
	v_dual_mul_f32 v181, v33, v3 :: v_dual_mul_f32 v182, v35, v113
	v_mul_f32_e32 v33, v33, v2
	s_delay_alu instid0(VALU_DEP_2) | instskip(NEXT) | instid1(VALU_DEP_3)
	v_dual_fmac_f32 v181, v32, v2 :: v_dual_mul_f32 v2, v35, v112
	v_dual_fmac_f32 v182, v34, v112 :: v_dual_mul_f32 v35, v9, v174
	v_mul_f32_e32 v9, v9, v173
	s_delay_alu instid0(VALU_DEP_4) | instskip(NEXT) | instid1(VALU_DEP_3)
	v_fma_f32 v3, v32, v3, -v33
	v_fmac_f32_e32 v35, v8, v173
	v_fma_f32 v33, v34, v113, -v2
	v_mul_f32_e32 v34, v31, v115
	v_mul_f32_e32 v2, v31, v114
	v_fma_f32 v113, v8, v174, -v9
	v_sub_f32_e32 v8, v181, v182
	v_mul_f32_e32 v32, v29, v117
	v_dual_mul_f32 v29, v29, v116 :: v_dual_fmac_f32 v34, v30, v114
	v_fma_f32 v30, v30, v115, -v2
	s_delay_alu instid0(VALU_DEP_3) | instskip(NEXT) | instid1(VALU_DEP_3)
	v_dual_mul_f32 v31, v15, v129 :: v_dual_fmac_f32 v32, v28, v116
	v_fma_f32 v28, v28, v117, -v29
	v_dual_mul_f32 v2, v15, v128 :: v_dual_mul_f32 v29, v13, v119
	v_dual_mul_f32 v13, v13, v118 :: v_dual_mul_f32 v112, v11, v131
	v_mul_f32_e32 v114, v5, v176
	s_delay_alu instid0(VALU_DEP_3)
	v_fma_f32 v15, v14, v129, -v2
	v_mul_f32_e32 v2, v11, v130
	v_add_f32_e32 v11, v28, v30
	v_fmac_f32_e32 v29, v12, v118
	v_fma_f32 v13, v12, v119, -v13
	v_dual_mul_f32 v5, v5, v175 :: v_dual_add_f32 v12, v123, v28
	s_delay_alu instid0(VALU_DEP_4)
	v_dual_mul_f32 v116, v7, v180 :: v_dual_fmac_f32 v123, -0.5, v11
	v_fma_f32 v115, v10, v131, -v2
	v_mul_f32_e32 v2, v7, v179
	v_fmac_f32_e32 v112, v10, v130
	v_fmac_f32_e32 v114, v4, v175
	v_fma_f32 v117, v4, v176, -v5
	v_dual_fmac_f32 v116, v6, v179 :: v_dual_add_f32 v5, v120, v181
	v_add_f32_e32 v4, v181, v182
	v_fma_f32 v118, v6, v180, -v2
	v_add_f32_e32 v6, v3, v33
	v_sub_f32_e32 v7, v3, v33
	v_fmac_f32_e32 v31, v14, v128
	v_fma_f32 v2, -0.5, v4, v120
	v_add_f32_e32 v4, v5, v182
	v_add_f32_e32 v5, v121, v3
	v_fma_f32 v3, -0.5, v6, v121
	v_add_f32_e32 v10, v122, v32
	s_delay_alu instid0(VALU_DEP_3) | instskip(SKIP_1) | instid1(VALU_DEP_4)
	v_dual_fmamk_f32 v6, v7, 0xbf5db3d7, v2 :: v_dual_add_f32 v5, v5, v33
	v_dual_add_f32 v33, v125, v13 :: v_dual_fmac_f32 v2, 0x3f5db3d7, v7
	v_fmamk_f32 v7, v8, 0x3f5db3d7, v3
	v_fmac_f32_e32 v3, 0xbf5db3d7, v8
	v_add_f32_e32 v9, v32, v34
	v_add_f32_e32 v8, v10, v34
	v_sub_f32_e32 v14, v32, v34
	v_sub_f32_e32 v32, v13, v15
	v_add_f32_e32 v34, v127, v113
	v_fma_f32 v122, -0.5, v9, v122
	v_sub_f32_e32 v9, v28, v30
	v_dual_add_f32 v28, v124, v29 :: v_dual_fmamk_f32 v11, v14, 0x3f5db3d7, v123
	s_delay_alu instid0(VALU_DEP_2)
	v_dual_fmac_f32 v123, 0xbf5db3d7, v14 :: v_dual_fmamk_f32 v10, v9, 0xbf5db3d7, v122
	v_dual_fmac_f32 v122, 0x3f5db3d7, v9 :: v_dual_add_f32 v9, v12, v30
	v_add_f32_e32 v12, v29, v31
	v_add_f32_e32 v30, v13, v15
	;; [unrolled: 1-line block ×5, first 2 shown]
	v_fma_f32 v12, -0.5, v12, v124
	v_fma_f32 v13, -0.5, v30, v125
	v_dual_sub_f32 v30, v29, v31 :: v_dual_add_f32 v31, v35, v112
	s_delay_alu instid0(VALU_DEP_3) | instskip(SKIP_2) | instid1(VALU_DEP_4)
	v_dual_fmac_f32 v127, -0.5, v33 :: v_dual_fmamk_f32 v28, v32, 0xbf5db3d7, v12
	v_fmac_f32_e32 v12, 0x3f5db3d7, v32
	v_add_f32_e32 v32, v126, v35
	v_fma_f32 v126, -0.5, v31, v126
	v_sub_f32_e32 v31, v113, v115
	v_sub_f32_e32 v35, v35, v112
	v_fmamk_f32 v29, v30, 0x3f5db3d7, v13
	v_dual_fmac_f32 v13, 0xbf5db3d7, v30 :: v_dual_add_f32 v30, v32, v112
	s_delay_alu instid0(VALU_DEP_4)
	v_fmamk_f32 v32, v31, 0xbf5db3d7, v126
	v_fmac_f32_e32 v126, 0x3f5db3d7, v31
	v_add_f32_e32 v31, v34, v115
	v_dual_add_f32 v34, v114, v116 :: v_dual_fmamk_f32 v33, v35, 0x3f5db3d7, v127
	v_fmac_f32_e32 v127, 0xbf5db3d7, v35
	v_add_f32_e32 v35, v117, v118
	v_add_f32_e32 v112, v0, v114
	s_delay_alu instid0(VALU_DEP_4) | instskip(SKIP_4) | instid1(VALU_DEP_4)
	v_fma_f32 v0, -0.5, v34, v0
	v_sub_f32_e32 v113, v117, v118
	v_add_f32_e32 v115, v1, v117
	v_dual_fmac_f32 v1, -0.5, v35 :: v_dual_sub_f32 v114, v114, v116
	v_add_f32_e32 v34, v112, v116
	v_fmamk_f32 v112, v113, 0xbf5db3d7, v0
	s_delay_alu instid0(VALU_DEP_4) | instskip(NEXT) | instid1(VALU_DEP_4)
	v_dual_fmac_f32 v0, 0x3f5db3d7, v113 :: v_dual_add_f32 v35, v115, v118
	v_fmamk_f32 v113, v114, 0x3f5db3d7, v1
	v_fmac_f32_e32 v1, 0xbf5db3d7, v114
	ds_store_2addr_b64 v195, v[4:5], v[6:7] offset1:6
	ds_store_b64 v195, v[2:3] offset:96
	ds_store_2addr_b64 v193, v[8:9], v[10:11] offset1:6
	ds_store_b64 v193, v[122:123] offset:96
	;; [unrolled: 2-line block ×5, first 2 shown]
	global_wb scope:SCOPE_SE
	s_wait_dscnt 0x0
	s_barrier_signal -1
	s_barrier_wait -1
	global_inv scope:SCOPE_SE
	ds_load_2addr_b64 v[0:3], v104 offset0:120 offset1:246
	ds_load_2addr_b64 v[4:7], v105 offset0:108 offset1:234
	;; [unrolled: 1-line block ×3, first 2 shown]
	ds_load_2addr_b64 v[12:15], v177 offset1:126
	ds_load_2addr_b64 v[28:31], v110 offset0:124 offset1:250
	ds_load_2addr_b64 v[32:35], v111 offset0:104 offset1:230
	;; [unrolled: 1-line block ×3, first 2 shown]
	ds_load_b64 v[104:105], v177 offset:14112
	global_wb scope:SCOPE_SE
	s_wait_dscnt 0x0
	s_barrier_signal -1
	s_barrier_wait -1
	global_inv scope:SCOPE_SE
	v_mul_f32_e32 v112, v53, v3
	v_mul_f32_e32 v53, v53, v2
	s_delay_alu instid0(VALU_DEP_2) | instskip(NEXT) | instid1(VALU_DEP_2)
	v_dual_mul_f32 v113, v55, v5 :: v_dual_fmac_f32 v112, v52, v2
	v_fma_f32 v3, v52, v3, -v53
	s_delay_alu instid0(VALU_DEP_2) | instskip(SKIP_1) | instid1(VALU_DEP_2)
	v_dual_mul_f32 v52, v49, v9 :: v_dual_fmac_f32 v113, v54, v4
	v_mul_f32_e32 v2, v55, v4
	v_fmac_f32_e32 v52, v48, v8
	v_dual_mul_f32 v4, v49, v8 :: v_dual_mul_f32 v49, v51, v7
	s_delay_alu instid0(VALU_DEP_1) | instskip(SKIP_2) | instid1(VALU_DEP_4)
	v_fma_f32 v9, v48, v9, -v4
	v_mul_f32_e32 v48, v45, v11
	v_mul_f32_e32 v4, v45, v10
	v_fmac_f32_e32 v49, v50, v6
	s_delay_alu instid0(VALU_DEP_3) | instskip(NEXT) | instid1(VALU_DEP_3)
	v_fmac_f32_e32 v48, v44, v10
	v_fma_f32 v44, v44, v11, -v4
	v_sub_f32_e32 v11, v112, v113
	v_fma_f32 v5, v54, v5, -v2
	v_mul_f32_e32 v2, v51, v6
	v_add_f32_e32 v10, v13, v3
	v_mul_f32_e32 v4, v41, v108
	s_delay_alu instid0(VALU_DEP_4) | instskip(NEXT) | instid1(VALU_DEP_4)
	v_sub_f32_e32 v8, v3, v5
	v_fma_f32 v45, v50, v7, -v2
	v_add_f32_e32 v7, v3, v5
	v_add_f32_e32 v5, v10, v5
	s_delay_alu instid0(VALU_DEP_2) | instskip(NEXT) | instid1(VALU_DEP_1)
	v_fma_f32 v3, -0.5, v7, v13
	v_fmamk_f32 v7, v11, 0x3f5db3d7, v3
	v_fmac_f32_e32 v3, 0xbf5db3d7, v11
	v_add_f32_e32 v11, v9, v45
	v_sub_f32_e32 v13, v52, v49
	v_mul_f32_e32 v50, v47, v33
	v_add_f32_e32 v6, v12, v112
	v_add_f32_e32 v10, v14, v52
	s_delay_alu instid0(VALU_DEP_3) | instskip(SKIP_2) | instid1(VALU_DEP_2)
	v_fmac_f32_e32 v50, v46, v32
	v_dual_mul_f32 v2, v47, v32 :: v_dual_mul_f32 v47, v41, v109
	v_mul_f32_e32 v41, v43, v35
	v_fma_f32 v33, v46, v33, -v2
	s_delay_alu instid0(VALU_DEP_3)
	v_fmac_f32_e32 v47, v40, v108
	v_fma_f32 v40, v40, v109, -v4
	v_mul_f32_e32 v2, v43, v34
	v_mul_f32_e32 v4, v37, v110
	v_fmac_f32_e32 v41, v42, v34
	v_dual_mul_f32 v43, v37, v111 :: v_dual_sub_f32 v34, v44, v33
	s_delay_alu instid0(VALU_DEP_4)
	v_fma_f32 v35, v42, v35, -v2
	v_mul_f32_e32 v42, v39, v105
	v_mul_f32_e32 v2, v39, v104
	v_fma_f32 v39, v36, v111, -v4
	v_add_f32_e32 v4, v112, v113
	v_dual_fmac_f32 v43, v36, v110 :: v_dual_add_f32 v36, v29, v44
	s_delay_alu instid0(VALU_DEP_4) | instskip(SKIP_1) | instid1(VALU_DEP_4)
	v_fma_f32 v46, v38, v105, -v2
	v_fmac_f32_e32 v42, v38, v104
	v_fma_f32 v2, -0.5, v4, v12
	v_sub_f32_e32 v12, v9, v45
	v_add_f32_e32 v9, v15, v9
	v_fmac_f32_e32 v15, -0.5, v11
	s_delay_alu instid0(VALU_DEP_2) | instskip(NEXT) | instid1(VALU_DEP_2)
	v_dual_sub_f32 v38, v40, v35 :: v_dual_add_f32 v9, v9, v45
	v_fmamk_f32 v11, v13, 0x3f5db3d7, v15
	v_fmac_f32_e32 v15, 0xbf5db3d7, v13
	v_dual_add_f32 v13, v44, v33 :: v_dual_sub_f32 v44, v39, v46
	s_delay_alu instid0(VALU_DEP_1) | instskip(SKIP_2) | instid1(VALU_DEP_1)
	v_fma_f32 v13, -0.5, v13, v29
	v_add_f32_e32 v29, v36, v33
	v_dual_sub_f32 v37, v48, v50 :: v_dual_add_f32 v36, v30, v47
	v_fmamk_f32 v33, v37, 0x3f5db3d7, v13
	v_fmac_f32_e32 v13, 0xbf5db3d7, v37
	v_dual_add_f32 v37, v40, v35 :: v_dual_add_f32 v40, v31, v40
	s_delay_alu instid0(VALU_DEP_1) | instskip(NEXT) | instid1(VALU_DEP_2)
	v_dual_add_f32 v32, v28, v48 :: v_dual_fmac_f32 v31, -0.5, v37
	v_dual_add_f32 v35, v40, v35 :: v_dual_add_f32 v40, v39, v46
	v_dual_add_f32 v4, v6, v113 :: v_dual_add_f32 v39, v1, v39
	s_delay_alu instid0(VALU_DEP_2) | instskip(SKIP_1) | instid1(VALU_DEP_3)
	v_dual_fmamk_f32 v6, v8, 0xbf5db3d7, v2 :: v_dual_fmac_f32 v1, -0.5, v40
	v_fmac_f32_e32 v2, 0x3f5db3d7, v8
	v_dual_add_f32 v8, v52, v49 :: v_dual_add_f32 v39, v39, v46
	s_delay_alu instid0(VALU_DEP_1) | instskip(SKIP_1) | instid1(VALU_DEP_2)
	v_fma_f32 v14, -0.5, v8, v14
	v_add_f32_e32 v8, v10, v49
	v_fmamk_f32 v10, v12, 0xbf5db3d7, v14
	v_fmac_f32_e32 v14, 0x3f5db3d7, v12
	v_add_f32_e32 v12, v48, v50
	s_delay_alu instid0(VALU_DEP_1) | instskip(SKIP_1) | instid1(VALU_DEP_2)
	v_fma_f32 v12, -0.5, v12, v28
	v_add_f32_e32 v28, v32, v50
	v_fmamk_f32 v32, v34, 0xbf5db3d7, v12
	v_fmac_f32_e32 v12, 0x3f5db3d7, v34
	v_add_f32_e32 v34, v47, v41
	s_delay_alu instid0(VALU_DEP_1) | instskip(SKIP_1) | instid1(VALU_DEP_2)
	v_fma_f32 v30, -0.5, v34, v30
	v_add_f32_e32 v34, v36, v41
	v_dual_sub_f32 v41, v47, v41 :: v_dual_fmamk_f32 v36, v38, 0xbf5db3d7, v30
	v_fmac_f32_e32 v30, 0x3f5db3d7, v38
	s_delay_alu instid0(VALU_DEP_2) | instskip(SKIP_3) | instid1(VALU_DEP_4)
	v_dual_add_f32 v38, v43, v42 :: v_dual_fmamk_f32 v37, v41, 0x3f5db3d7, v31
	v_fmac_f32_e32 v31, 0xbf5db3d7, v41
	v_add_f32_e32 v41, v0, v43
	v_sub_f32_e32 v43, v43, v42
	v_fma_f32 v0, -0.5, v38, v0
	s_delay_alu instid0(VALU_DEP_2) | instskip(NEXT) | instid1(VALU_DEP_2)
	v_dual_add_f32 v38, v41, v42 :: v_dual_fmamk_f32 v41, v43, 0x3f5db3d7, v1
	v_fmamk_f32 v40, v44, 0xbf5db3d7, v0
	v_fmac_f32_e32 v0, 0x3f5db3d7, v44
	v_fmac_f32_e32 v1, 0xbf5db3d7, v43
	ds_store_2addr_b64 v200, v[4:5], v[6:7] offset1:18
	ds_store_b64 v200, v[2:3] offset:288
	ds_store_2addr_b64 v199, v[8:9], v[10:11] offset1:18
	ds_store_b64 v199, v[14:15] offset:288
	;; [unrolled: 2-line block ×5, first 2 shown]
	v_add_nc_u32_e32 v9, 0x2800, v177
	v_add_nc_u32_e32 v6, 0x800, v177
	global_wb scope:SCOPE_SE
	s_wait_dscnt 0x0
	s_barrier_signal -1
	s_barrier_wait -1
	global_inv scope:SCOPE_SE
	ds_load_2addr_b64 v[2:5], v177 offset1:126
	ds_load_2addr_b64 v[32:35], v6 offset0:14 offset1:140
	v_add_nc_u32_e32 v6, 0x1000, v177
	v_add_nc_u32_e32 v7, 0x1800, v177
	;; [unrolled: 1-line block ×4, first 2 shown]
	ds_load_2addr_b64 v[40:43], v6 offset0:28 offset1:154
	ds_load_2addr_b64 v[36:39], v7 offset0:42 offset1:168
	ds_load_2addr_b64 v[28:31], v8 offset0:56 offset1:182
	ds_load_2addr_b64 v[10:13], v9 offset0:70 offset1:196
	ds_load_2addr_b64 v[6:9], v14 offset0:84 offset1:210
	s_and_saveexec_b32 s1, s0
	s_cbranch_execz .LBB0_19
; %bb.18:
	ds_load_b64 v[0:1], v177 offset:2016
	ds_load_b64 v[106:107], v177 offset:4176
	;; [unrolled: 1-line block ×7, first 2 shown]
.LBB0_19:
	s_wait_alu 0xfffe
	s_or_b32 exec_lo, exec_lo, s1
	s_wait_dscnt 0x4
	v_dual_mul_f32 v14, v77, v33 :: v_dual_mul_f32 v45, v79, v40
	v_dual_mul_f32 v15, v77, v32 :: v_dual_mul_f32 v44, v79, v41
	global_wb scope:SCOPE_SE
	s_wait_dscnt 0x0
	v_fmac_f32_e32 v14, v76, v32
	v_fma_f32 v32, v78, v41, -v45
	v_fma_f32 v15, v76, v33, -v15
	v_dual_mul_f32 v33, v73, v37 :: v_dual_fmac_f32 v44, v78, v40
	v_dual_mul_f32 v41, v75, v29 :: v_dual_mul_f32 v40, v73, v36
	v_dual_mul_f32 v45, v75, v28 :: v_dual_mul_f32 v46, v69, v11
	s_delay_alu instid0(VALU_DEP_3) | instskip(NEXT) | instid1(VALU_DEP_3)
	v_fmac_f32_e32 v33, v72, v36
	v_fmac_f32_e32 v41, v74, v28
	s_barrier_signal -1
	s_delay_alu instid0(VALU_DEP_3)
	v_fma_f32 v28, v74, v29, -v45
	v_fmac_f32_e32 v46, v68, v10
	v_dual_mul_f32 v10, v69, v10 :: v_dual_mul_f32 v29, v71, v7
	v_fma_f32 v36, v72, v37, -v40
	v_dual_mul_f32 v37, v71, v6 :: v_dual_mul_f32 v40, v65, v35
	v_mul_f32_e32 v45, v65, v34
	s_delay_alu instid0(VALU_DEP_4) | instskip(SKIP_1) | instid1(VALU_DEP_4)
	v_fma_f32 v10, v68, v11, -v10
	v_fmac_f32_e32 v29, v70, v6
	v_fma_f32 v6, v70, v7, -v37
	v_mul_f32_e32 v37, v61, v39
	v_mul_f32_e32 v11, v61, v38
	v_fmac_f32_e32 v40, v64, v34
	v_fma_f32 v34, v64, v35, -v45
	v_mul_f32_e32 v35, v67, v43
	v_mul_f32_e32 v7, v67, v42
	;; [unrolled: 1-line block ×3, first 2 shown]
	v_fmac_f32_e32 v37, v60, v38
	v_fma_f32 v38, v60, v39, -v11
	v_mul_f32_e32 v11, v57, v12
	v_mul_f32_e32 v39, v59, v9
	s_barrier_wait -1
	global_inv scope:SCOPE_SE
	v_fma_f32 v47, v56, v13, -v11
	v_fmac_f32_e32 v39, v58, v8
	v_add_f32_e32 v11, v44, v46
	v_fmac_f32_e32 v35, v66, v42
	v_fma_f32 v42, v66, v43, -v7
	v_mul_f32_e32 v7, v63, v30
	v_mul_f32_e32 v43, v59, v8
	v_add_f32_e32 v8, v15, v6
	v_dual_sub_f32 v6, v15, v6 :: v_dual_add_f32 v15, v36, v28
	v_dual_fmac_f32 v45, v62, v30 :: v_dual_mul_f32 v30, v57, v13
	v_sub_f32_e32 v28, v28, v36
	v_fma_f32 v31, v62, v31, -v7
	v_sub_f32_e32 v13, v44, v46
	s_delay_alu instid0(VALU_DEP_4) | instskip(SKIP_2) | instid1(VALU_DEP_1)
	v_fmac_f32_e32 v30, v56, v12
	v_add_f32_e32 v12, v32, v10
	v_sub_f32_e32 v10, v32, v10
	v_add_f32_e32 v46, v28, v10
	v_sub_f32_e32 v49, v28, v10
	v_sub_f32_e32 v10, v10, v6
	v_add_f32_e32 v7, v14, v29
	v_fma_f32 v43, v58, v9, -v43
	v_sub_f32_e32 v9, v14, v29
	v_add_f32_e32 v14, v33, v41
	v_sub_f32_e32 v29, v41, v33
	v_add_f32_e32 v33, v12, v8
	v_sub_f32_e32 v41, v12, v8
	v_sub_f32_e32 v12, v15, v12
	v_sub_f32_e32 v28, v6, v28
	v_add_f32_e32 v32, v11, v7
	v_sub_f32_e32 v36, v11, v7
	v_dual_sub_f32 v7, v7, v14 :: v_dual_sub_f32 v8, v8, v15
	v_sub_f32_e32 v11, v14, v11
	s_delay_alu instid0(VALU_DEP_4)
	v_add_f32_e32 v14, v14, v32
	v_add_f32_e32 v6, v46, v6
	;; [unrolled: 1-line block ×3, first 2 shown]
	v_sub_f32_e32 v48, v29, v13
	v_dual_mul_f32 v8, 0x3f4a47b2, v8 :: v_dual_sub_f32 v13, v13, v9
	v_dual_add_f32 v2, v2, v14 :: v_dual_sub_f32 v29, v9, v29
	s_delay_alu instid0(VALU_DEP_1) | instskip(NEXT) | instid1(VALU_DEP_4)
	v_dual_fmamk_f32 v14, v14, 0xbf955555, v2 :: v_dual_add_f32 v9, v44, v9
	v_dual_mul_f32 v44, 0x3f08b237, v48 :: v_dual_add_f32 v15, v15, v33
	s_delay_alu instid0(VALU_DEP_4) | instskip(SKIP_3) | instid1(VALU_DEP_4)
	v_dual_mul_f32 v33, 0x3d64c772, v12 :: v_dual_fmamk_f32 v12, v12, 0x3d64c772, v8
	v_mul_f32_e32 v48, 0xbf5ff5aa, v13
	v_mul_f32_e32 v46, 0x3f08b237, v49
	;; [unrolled: 1-line block ×3, first 2 shown]
	v_fma_f32 v33, 0x3f3bfb3b, v41, -v33
	v_fma_f32 v8, 0xbf3bfb3b, v41, -v8
	v_fma_f32 v13, 0xbf5ff5aa, v13, -v44
	v_fmamk_f32 v41, v28, 0xbeae86e6, v46
	v_fma_f32 v32, 0x3f3bfb3b, v36, -v32
	s_delay_alu instid0(VALU_DEP_2) | instskip(SKIP_1) | instid1(VALU_DEP_1)
	v_fmac_f32_e32 v41, 0xbee1c552, v6
	v_mul_f32_e32 v7, 0x3f4a47b2, v7
	v_fmamk_f32 v11, v11, 0x3d64c772, v7
	v_fma_f32 v7, 0xbf3bfb3b, v36, -v7
	v_dual_fmamk_f32 v36, v29, 0xbeae86e6, v44 :: v_dual_add_f32 v3, v3, v15
	v_fma_f32 v44, 0xbf5ff5aa, v10, -v46
	v_fma_f32 v29, 0x3eae86e6, v29, -v48
	s_delay_alu instid0(VALU_DEP_3) | instskip(NEXT) | instid1(VALU_DEP_1)
	v_fmamk_f32 v15, v15, 0xbf955555, v3
	v_dual_mul_f32 v49, 0xbf5ff5aa, v10 :: v_dual_add_f32 v48, v12, v15
	v_add_f32_e32 v12, v32, v14
	v_add_f32_e32 v32, v33, v15
	s_delay_alu instid0(VALU_DEP_3) | instskip(SKIP_1) | instid1(VALU_DEP_2)
	v_fma_f32 v28, 0x3eae86e6, v28, -v49
	v_fmac_f32_e32 v44, 0xbee1c552, v6
	v_fmac_f32_e32 v28, 0xbee1c552, v6
	s_delay_alu instid0(VALU_DEP_2) | instskip(SKIP_4) | instid1(VALU_DEP_3)
	v_sub_f32_e32 v10, v12, v44
	v_add_f32_e32 v46, v11, v14
	v_dual_add_f32 v14, v7, v14 :: v_dual_add_f32 v15, v8, v15
	v_fmac_f32_e32 v36, 0xbee1c552, v9
	v_fmac_f32_e32 v13, 0xbee1c552, v9
	v_dual_fmac_f32 v29, 0xbee1c552, v9 :: v_dual_add_f32 v8, v28, v14
	v_sub_f32_e32 v14, v14, v28
	s_delay_alu instid0(VALU_DEP_4) | instskip(NEXT) | instid1(VALU_DEP_3)
	v_sub_f32_e32 v7, v48, v36
	v_dual_add_f32 v12, v44, v12 :: v_dual_sub_f32 v9, v15, v29
	v_dual_add_f32 v11, v13, v32 :: v_dual_sub_f32 v28, v46, v41
	v_sub_f32_e32 v13, v32, v13
	v_add_f32_e32 v15, v29, v15
	v_add_f32_e32 v29, v36, v48
	;; [unrolled: 1-line block ×3, first 2 shown]
	v_dual_sub_f32 v36, v40, v39 :: v_dual_add_f32 v39, v35, v30
	v_add_f32_e32 v33, v34, v43
	v_add_f32_e32 v40, v42, v47
	;; [unrolled: 1-line block ×3, first 2 shown]
	v_sub_f32_e32 v34, v34, v43
	v_dual_sub_f32 v30, v35, v30 :: v_dual_sub_f32 v35, v42, v47
	v_dual_sub_f32 v44, v39, v32 :: v_dual_add_f32 v41, v37, v45
	v_dual_add_f32 v42, v38, v31 :: v_dual_sub_f32 v37, v45, v37
	v_sub_f32_e32 v31, v31, v38
	v_add_f32_e32 v38, v39, v32
	s_delay_alu instid0(VALU_DEP_4)
	v_sub_f32_e32 v32, v32, v41
	v_add_f32_e32 v43, v40, v33
	v_dual_sub_f32 v45, v40, v33 :: v_dual_sub_f32 v40, v42, v40
	v_sub_f32_e32 v48, v37, v30
	v_add_f32_e32 v46, v37, v30
	v_sub_f32_e32 v39, v41, v39
	v_dual_add_f32 v47, v31, v35 :: v_dual_add_f32 v38, v41, v38
	v_add_f32_e32 v41, v42, v43
	v_dual_sub_f32 v33, v33, v42 :: v_dual_sub_f32 v30, v30, v36
	s_delay_alu instid0(VALU_DEP_3)
	v_dual_sub_f32 v49, v31, v35 :: v_dual_add_f32 v4, v4, v38
	v_sub_f32_e32 v37, v36, v37
	v_dual_sub_f32 v31, v34, v31 :: v_dual_mul_f32 v32, 0x3f4a47b2, v32
	v_add_f32_e32 v36, v46, v36
	v_dual_mul_f32 v46, 0x3f08b237, v48 :: v_dual_add_f32 v5, v5, v41
	v_mul_f32_e32 v48, 0xbf5ff5aa, v30
	v_dual_sub_f32 v35, v35, v34 :: v_dual_mul_f32 v42, 0x3d64c772, v39
	s_delay_alu instid0(VALU_DEP_3) | instskip(SKIP_2) | instid1(VALU_DEP_4)
	v_dual_fmamk_f32 v38, v38, 0xbf955555, v4 :: v_dual_fmamk_f32 v41, v41, 0xbf955555, v5
	v_fmamk_f32 v39, v39, 0x3d64c772, v32
	v_dual_mul_f32 v33, 0x3f4a47b2, v33 :: v_dual_add_f32 v34, v47, v34
	v_fma_f32 v42, 0x3f3bfb3b, v44, -v42
	v_fma_f32 v32, 0xbf3bfb3b, v44, -v32
	s_delay_alu instid0(VALU_DEP_4) | instskip(NEXT) | instid1(VALU_DEP_4)
	v_dual_add_f32 v50, v39, v38 :: v_dual_mul_f32 v43, 0x3d64c772, v40
	v_fmamk_f32 v40, v40, 0x3d64c772, v33
	v_mul_f32_e32 v47, 0x3f08b237, v49
	v_fma_f32 v33, 0xbf3bfb3b, v45, -v33
	v_mul_f32_e32 v49, 0xbf5ff5aa, v35
	v_fma_f32 v43, 0x3f3bfb3b, v45, -v43
	v_fmamk_f32 v44, v37, 0xbeae86e6, v46
	v_fma_f32 v46, 0xbf5ff5aa, v30, -v46
	v_fma_f32 v48, 0x3eae86e6, v37, -v48
	v_add_f32_e32 v37, v42, v38
	v_dual_add_f32 v38, v32, v38 :: v_dual_fmamk_f32 v45, v31, 0xbeae86e6, v47
	s_delay_alu instid0(VALU_DEP_4) | instskip(SKIP_4) | instid1(VALU_DEP_4)
	v_fmac_f32_e32 v46, 0xbee1c552, v36
	v_fma_f32 v47, 0xbf5ff5aa, v35, -v47
	v_dual_add_f32 v51, v40, v41 :: v_dual_fmac_f32 v44, 0xbee1c552, v36
	v_add_f32_e32 v40, v33, v41
	v_fma_f32 v49, 0x3eae86e6, v31, -v49
	v_fmac_f32_e32 v47, 0xbee1c552, v34
	v_dual_add_f32 v39, v43, v41 :: v_dual_fmac_f32 v48, 0xbee1c552, v36
	v_add_nc_u32_e32 v42, 0x400, v202
	s_delay_alu instid0(VALU_DEP_3) | instskip(SKIP_1) | instid1(VALU_DEP_4)
	v_dual_fmac_f32 v49, 0xbee1c552, v34 :: v_dual_add_f32 v36, v47, v37
	v_sub_f32_e32 v31, v51, v44
	v_add_f32_e32 v35, v46, v39
	ds_store_2addr_b64 v202, v[2:3], v[6:7] offset1:54
	ds_store_2addr_b64 v202, v[8:9], v[10:11] offset0:108 offset1:162
	v_add_f32_e32 v32, v49, v38
	v_dual_sub_f32 v38, v38, v49 :: v_dual_fmac_f32 v45, 0xbee1c552, v34
	v_dual_sub_f32 v34, v37, v47 :: v_dual_sub_f32 v33, v40, v48
	v_dual_sub_f32 v37, v39, v46 :: v_dual_add_nc_u32 v2, 0x400, v201
	s_delay_alu instid0(VALU_DEP_3)
	v_dual_add_f32 v30, v45, v50 :: v_dual_add_f32 v39, v48, v40
	v_dual_sub_f32 v40, v50, v45 :: v_dual_add_f32 v41, v44, v51
	ds_store_2addr_b64 v42, v[12:13], v[14:15] offset0:88 offset1:142
	ds_store_b64 v202, v[28:29] offset:2592
	ds_store_2addr_b64 v201, v[4:5], v[30:31] offset1:54
	ds_store_2addr_b64 v201, v[32:33], v[34:35] offset0:108 offset1:162
	ds_store_2addr_b64 v2, v[36:37], v[38:39] offset0:88 offset1:142
	ds_store_b64 v201, v[40:41] offset:2592
	s_and_saveexec_b32 s1, s0
	s_cbranch_execz .LBB0_21
; %bb.20:
	v_dual_mul_f32 v2, v21, v107 :: v_dual_mul_f32 v3, v19, v168
	v_dual_mul_f32 v4, v17, v166 :: v_dual_mul_f32 v5, v23, v164
	;; [unrolled: 1-line block ×3, first 2 shown]
	s_delay_alu instid0(VALU_DEP_2) | instskip(NEXT) | instid1(VALU_DEP_2)
	v_dual_fmac_f32 v3, v18, v167 :: v_dual_fmac_f32 v4, v16, v165
	v_dual_fmac_f32 v5, v22, v163 :: v_dual_fmac_f32 v6, v24, v169
	s_delay_alu instid0(VALU_DEP_3) | instskip(NEXT) | instid1(VALU_DEP_3)
	v_dual_fmac_f32 v2, v20, v106 :: v_dual_fmac_f32 v7, v26, v171
	v_sub_f32_e32 v8, v3, v4
	v_dual_mul_f32 v10, v27, v171 :: v_dual_mul_f32 v13, v21, v106
	s_delay_alu instid0(VALU_DEP_4) | instskip(NEXT) | instid1(VALU_DEP_4)
	v_sub_f32_e32 v9, v5, v6
	v_sub_f32_e32 v11, v2, v7
	v_mul_f32_e32 v15, v25, v169
	v_mul_f32_e32 v19, v19, v167
	v_fma_f32 v13, v20, v107, -v13
	v_sub_f32_e32 v12, v8, v9
	v_sub_f32_e32 v14, v11, v8
	v_mul_f32_e32 v21, v23, v163
	v_fma_f32 v15, v24, v170, -v15
	v_fma_f32 v10, v26, v172, -v10
	v_mul_f32_e32 v12, 0x3f08b237, v12
	v_add_f32_e32 v8, v8, v9
	v_fma_f32 v20, v22, v164, -v21
	v_mul_f32_e32 v17, v17, v165
	v_add_f32_e32 v21, v10, v13
	s_delay_alu instid0(VALU_DEP_4) | instskip(SKIP_1) | instid1(VALU_DEP_4)
	v_dual_add_f32 v5, v6, v5 :: v_dual_add_f32 v8, v8, v11
	v_add_f32_e32 v2, v7, v2
	v_fma_f32 v16, v16, v166, -v17
	v_fma_f32 v17, v18, v168, -v19
	v_dual_add_f32 v18, v15, v20 :: v_dual_fmamk_f32 v19, v14, 0xbeae86e6, v12
	v_sub_f32_e32 v15, v20, v15
	s_delay_alu instid0(VALU_DEP_3) | instskip(NEXT) | instid1(VALU_DEP_3)
	v_dual_sub_f32 v9, v9, v11 :: v_dual_add_f32 v22, v16, v17
	v_add_f32_e32 v23, v18, v21
	s_delay_alu instid0(VALU_DEP_4)
	v_fmac_f32_e32 v19, 0xbee1c552, v8
	v_sub_f32_e32 v16, v17, v16
	v_sub_f32_e32 v10, v13, v10
	v_sub_f32_e32 v24, v21, v22
	v_sub_f32_e32 v6, v22, v18
	v_add_f32_e32 v23, v22, v23
	s_delay_alu instid0(VALU_DEP_3) | instskip(NEXT) | instid1(VALU_DEP_3)
	v_dual_sub_f32 v18, v18, v21 :: v_dual_mul_f32 v7, 0x3f4a47b2, v24
	v_dual_add_f32 v3, v4, v3 :: v_dual_mul_f32 v22, 0x3d64c772, v6
	v_add_f32_e32 v4, v5, v2
	s_delay_alu instid0(VALU_DEP_3) | instskip(NEXT) | instid1(VALU_DEP_3)
	v_dual_fmamk_f32 v6, v6, 0x3d64c772, v7 :: v_dual_add_f32 v1, v1, v23
	v_sub_f32_e32 v20, v3, v5
	s_delay_alu instid0(VALU_DEP_3)
	v_add_f32_e32 v4, v3, v4
	v_sub_f32_e32 v24, v2, v3
	v_sub_f32_e32 v3, v16, v15
	v_fmamk_f32 v23, v23, 0xbf955555, v1
	v_mul_f32_e32 v11, 0x3d64c772, v20
	v_add_f32_e32 v0, v0, v4
	v_mul_f32_e32 v17, 0x3f4a47b2, v24
	v_sub_f32_e32 v24, v10, v16
	v_add_f32_e32 v6, v6, v23
	v_dual_mul_f32 v25, 0x3f08b237, v3 :: v_dual_sub_f32 v2, v5, v2
	s_delay_alu instid0(VALU_DEP_4) | instskip(NEXT) | instid1(VALU_DEP_3)
	v_fmamk_f32 v13, v20, 0x3d64c772, v17
	v_dual_fmamk_f32 v4, v4, 0xbf955555, v0 :: v_dual_add_f32 v3, v19, v6
	s_delay_alu instid0(VALU_DEP_3) | instskip(SKIP_1) | instid1(VALU_DEP_3)
	v_dual_fmamk_f32 v26, v24, 0xbeae86e6, v25 :: v_dual_sub_f32 v5, v15, v10
	v_fma_f32 v7, 0xbf3bfb3b, v18, -v7
	v_dual_add_f32 v20, v13, v4 :: v_dual_add_f32 v13, v16, v15
	v_mul_f32_e32 v16, 0xbf5ff5aa, v9
	s_delay_alu instid0(VALU_DEP_4) | instskip(SKIP_1) | instid1(VALU_DEP_4)
	v_mul_f32_e32 v15, 0xbf5ff5aa, v5
	v_fma_f32 v9, 0xbf5ff5aa, v9, -v12
	v_add_f32_e32 v10, v13, v10
	s_delay_alu instid0(VALU_DEP_4)
	v_fma_f32 v13, 0x3eae86e6, v14, -v16
	v_fma_f32 v14, 0xbf3bfb3b, v2, -v17
	;; [unrolled: 1-line block ×5, first 2 shown]
	v_dual_fmac_f32 v13, 0xbee1c552, v8 :: v_dual_add_f32 v16, v7, v23
	s_delay_alu instid0(VALU_DEP_4) | instskip(SKIP_3) | instid1(VALU_DEP_3)
	v_fmac_f32_e32 v15, 0xbee1c552, v10
	v_fma_f32 v7, 0x3f3bfb3b, v18, -v22
	v_dual_fmac_f32 v26, 0xbee1c552, v10 :: v_dual_fmac_f32 v9, 0xbee1c552, v8
	v_dual_add_f32 v14, v14, v4 :: v_dual_fmac_f32 v17, 0xbee1c552, v10
	v_add_f32_e32 v11, v7, v23
	v_lshlrev_b32_e32 v18, 3, v203
	v_add_f32_e32 v2, v2, v4
	s_delay_alu instid0(VALU_DEP_4) | instskip(NEXT) | instid1(VALU_DEP_4)
	v_dual_add_f32 v5, v13, v16 :: v_dual_sub_f32 v4, v14, v15
	v_sub_f32_e32 v7, v11, v9
	s_delay_alu instid0(VALU_DEP_3)
	v_dual_add_f32 v9, v9, v11 :: v_dual_sub_f32 v8, v2, v17
	v_dual_sub_f32 v11, v16, v13 :: v_dual_add_f32 v10, v15, v14
	v_sub_f32_e32 v13, v6, v19
	v_dual_add_f32 v12, v26, v20 :: v_dual_add_nc_u32 v15, 0x3000, v18
	v_add_nc_u32_e32 v14, 0x2c00, v18
	v_add_f32_e32 v6, v17, v2
	v_sub_f32_e32 v2, v20, v26
	ds_store_2addr_b64 v14, v[0:1], v[12:13] offset0:104 offset1:158
	ds_store_2addr_b64 v15, v[10:11], v[8:9] offset0:84 offset1:138
	;; [unrolled: 1-line block ×3, first 2 shown]
	ds_store_b64 v18, v[2:3] offset:14688
.LBB0_21:
	s_wait_alu 0xfffe
	s_or_b32 exec_lo, exec_lo, s1
	v_add_nc_u32_e32 v1, 0x400, v177
	global_wb scope:SCOPE_SE
	s_wait_dscnt 0x0
	s_barrier_signal -1
	s_barrier_wait -1
	global_inv scope:SCOPE_SE
	ds_load_2addr_b64 v[2:5], v1 offset0:124 offset1:250
	v_add_nc_u32_e32 v0, 0x1400, v177
	v_add_nc_u32_e32 v10, 0x1c00, v177
	;; [unrolled: 1-line block ×4, first 2 shown]
	s_mov_b32 s2, 0xbc011567
	s_mov_b32 s3, 0x3f41566a
	s_wait_dscnt 0x0
	v_mul_f32_e32 v33, v81, v4
	ds_load_2addr_b64 v[6:9], v0 offset0:116 offset1:242
	ds_load_2addr_b64 v[10:13], v10 offset0:112 offset1:238
	;; [unrolled: 1-line block ×3, first 2 shown]
	v_add_nc_u32_e32 v0, 0xc00, v177
	v_mul_f32_e32 v32, v81, v5
	v_fma_f32 v33, v80, v5, -v33
	s_wait_dscnt 0x2
	s_delay_alu instid0(VALU_DEP_2)
	v_dual_fmac_f32 v32, v80, v4 :: v_dual_mul_f32 v35, v83, v6
	s_wait_dscnt 0x1
	v_mul_f32_e32 v37, v97, v12
	s_wait_dscnt 0x0
	v_mul_f32_e32 v39, v99, v14
	ds_load_2addr_b64 v[18:21], v0 offset0:120 offset1:246
	ds_load_2addr_b64 v[22:25], v177 offset1:126
	ds_load_b64 v[30:31], v177 offset:14112
	ds_load_2addr_b64 v[26:29], v26 offset0:108 offset1:234
	v_mul_f32_e32 v34, v83, v7
	v_mul_f32_e32 v38, v99, v15
	v_fma_f32 v35, v82, v7, -v35
	v_fma_f32 v37, v96, v13, -v37
	s_delay_alu instid0(VALU_DEP_4)
	v_fmac_f32_e32 v34, v82, v6
	s_wait_dscnt 0x3
	v_mul_f32_e32 v4, v93, v18
	s_wait_dscnt 0x0
	v_mul_f32_e32 v41, v89, v27
	v_mul_f32_e32 v5, v89, v26
	;; [unrolled: 1-line block ×3, first 2 shown]
	v_fmac_f32_e32 v38, v98, v14
	v_fma_f32 v14, v98, v15, -v39
	v_fma_f32 v39, v92, v19, -v4
	v_fmac_f32_e32 v41, v88, v26
	v_fma_f32 v26, v88, v27, -v5
	v_mul_f32_e32 v5, v101, v20
	v_mul_f32_e32 v27, v101, v21
	v_dual_mul_f32 v40, v93, v19 :: v_dual_mul_f32 v19, v95, v9
	v_mul_f32_e32 v6, v103, v10
	v_dual_mul_f32 v4, v95, v8 :: v_dual_sub_f32 v7, v33, v14
	s_delay_alu instid0(VALU_DEP_4) | instskip(NEXT) | instid1(VALU_DEP_4)
	v_fmac_f32_e32 v27, v100, v20
	v_fmac_f32_e32 v40, v92, v18
	v_fma_f32 v46, v100, v21, -v5
	v_mul_f32_e32 v5, v85, v28
	v_fma_f32 v47, v102, v11, -v6
	v_add_f32_e32 v6, v22, v32
	v_dual_fmac_f32 v36, v96, v12 :: v_dual_mul_f32 v49, v87, v31
	v_fma_f32 v43, v94, v9, -v4
	v_mul_f32_e32 v4, v91, v16
	v_mul_f32_e32 v48, v85, v29
	v_fma_f32 v29, v84, v29, -v5
	v_dual_add_f32 v5, v6, v34 :: v_dual_mul_f32 v44, v103, v11
	v_dual_mul_f32 v42, v91, v17 :: v_dual_fmac_f32 v49, v86, v30
	v_fmac_f32_e32 v19, v94, v8
	v_fma_f32 v45, v90, v17, -v4
	s_delay_alu instid0(VALU_DEP_4)
	v_dual_sub_f32 v8, v32, v34 :: v_dual_add_f32 v5, v5, v36
	v_dual_fmac_f32 v44, v102, v10 :: v_dual_add_f32 v15, v23, v33
	v_sub_f32_e32 v10, v38, v36
	v_add_f32_e32 v4, v34, v36
	v_dual_fmac_f32 v42, v90, v16 :: v_dual_add_f32 v11, v32, v38
	v_sub_f32_e32 v9, v35, v37
	s_delay_alu instid0(VALU_DEP_4) | instskip(NEXT) | instid1(VALU_DEP_4)
	v_add_f32_e32 v13, v8, v10
	v_fma_f32 v4, -0.5, v4, v22
	v_dual_mul_f32 v12, v87, v30 :: v_dual_sub_f32 v17, v33, v35
	v_fma_f32 v8, -0.5, v11, v22
	v_add_f32_e32 v10, v5, v38
	s_delay_alu instid0(VALU_DEP_4) | instskip(SKIP_3) | instid1(VALU_DEP_4)
	v_fmamk_f32 v6, v7, 0xbf737871, v4
	v_fmac_f32_e32 v4, 0x3f737871, v7
	v_fma_f32 v50, v86, v31, -v12
	v_dual_fmamk_f32 v12, v9, 0x3f737871, v8 :: v_dual_add_f32 v21, v24, v40
	v_dual_fmac_f32 v6, 0xbf167918, v9 :: v_dual_sub_f32 v5, v34, v32
	v_sub_f32_e32 v11, v36, v38
	v_fmac_f32_e32 v48, v84, v28
	v_fmac_f32_e32 v4, 0x3f167918, v9
	v_dual_fmac_f32 v8, 0xbf737871, v9 :: v_dual_add_f32 v9, v15, v35
	v_dual_sub_f32 v15, v32, v38 :: v_dual_add_f32 v16, v35, v37
	v_dual_add_f32 v11, v5, v11 :: v_dual_sub_f32 v18, v14, v37
	v_fmac_f32_e32 v6, 0x3e9e377a, v13
	s_delay_alu instid0(VALU_DEP_4) | instskip(NEXT) | instid1(VALU_DEP_4)
	v_fmac_f32_e32 v8, 0x3f167918, v7
	v_fma_f32 v5, -0.5, v16, v23
	s_delay_alu instid0(VALU_DEP_4) | instskip(SKIP_2) | instid1(VALU_DEP_4)
	v_dual_fmac_f32 v4, 0x3e9e377a, v13 :: v_dual_add_f32 v17, v17, v18
	v_sub_f32_e32 v16, v34, v36
	v_fmac_f32_e32 v12, 0xbf167918, v7
	v_fmamk_f32 v7, v15, 0x3f737871, v5
	v_fmac_f32_e32 v5, 0xbf737871, v15
	v_add_f32_e32 v13, v9, v37
	v_dual_add_f32 v9, v33, v14 :: v_dual_sub_f32 v18, v35, v33
	s_delay_alu instid0(VALU_DEP_3) | instskip(SKIP_1) | instid1(VALU_DEP_3)
	v_dual_add_f32 v30, v43, v26 :: v_dual_fmac_f32 v5, 0xbf167918, v16
	v_sub_f32_e32 v31, v39, v43
	v_fma_f32 v9, -0.5, v9, v23
	v_dual_sub_f32 v23, v42, v41 :: v_dual_sub_f32 v32, v45, v26
	s_delay_alu instid0(VALU_DEP_4)
	v_fmac_f32_e32 v5, 0x3e9e377a, v17
	v_fmac_f32_e32 v7, 0x3f167918, v16
	;; [unrolled: 1-line block ×3, first 2 shown]
	v_add_f32_e32 v34, v27, v49
	v_sub_f32_e32 v36, v50, v29
	v_sub_f32_e32 v33, v47, v29
	v_fmac_f32_e32 v7, 0x3e9e377a, v17
	v_add_f32_e32 v17, v21, v19
	v_dual_sub_f32 v21, v43, v26 :: v_dual_fmac_f32 v8, 0x3e9e377a, v11
	v_add_f32_e32 v11, v13, v14
	v_fmamk_f32 v13, v16, 0xbf737871, v9
	v_dual_fmac_f32 v9, 0x3f737871, v16 :: v_dual_sub_f32 v14, v37, v14
	v_sub_f32_e32 v35, v27, v49
	v_sub_f32_e32 v37, v47, v46
	s_delay_alu instid0(VALU_DEP_4) | instskip(NEXT) | instid1(VALU_DEP_4)
	v_fmac_f32_e32 v13, 0x3f167918, v15
	v_dual_fmac_f32 v9, 0xbf167918, v15 :: v_dual_add_f32 v18, v18, v14
	v_add_f32_e32 v15, v17, v41
	s_delay_alu instid0(VALU_DEP_2) | instskip(NEXT) | instid1(VALU_DEP_4)
	v_dual_add_f32 v20, v19, v41 :: v_dual_fmac_f32 v9, 0x3e9e377a, v18
	v_fmac_f32_e32 v13, 0x3e9e377a, v18
	s_delay_alu instid0(VALU_DEP_2) | instskip(SKIP_4) | instid1(VALU_DEP_3)
	v_fma_f32 v14, -0.5, v20, v24
	v_sub_f32_e32 v20, v40, v19
	v_sub_f32_e32 v22, v39, v45
	v_add_f32_e32 v18, v15, v42
	v_sub_f32_e32 v15, v19, v40
	v_dual_add_f32 v17, v20, v23 :: v_dual_fmamk_f32 v16, v22, 0xbf737871, v14
	v_sub_f32_e32 v23, v41, v42
	v_add_f32_e32 v28, v40, v42
	s_delay_alu instid0(VALU_DEP_2) | instskip(NEXT) | instid1(VALU_DEP_2)
	v_dual_fmac_f32 v14, 0x3f737871, v22 :: v_dual_add_f32 v23, v15, v23
	v_fma_f32 v24, -0.5, v28, v24
	v_fma_f32 v15, -0.5, v30, v25
	v_add_f32_e32 v28, v25, v39
	s_delay_alu instid0(VALU_DEP_3) | instskip(SKIP_1) | instid1(VALU_DEP_2)
	v_fmamk_f32 v20, v21, 0x3f737871, v24
	v_fmac_f32_e32 v24, 0xbf737871, v21
	v_fmac_f32_e32 v20, 0xbf167918, v22
	s_delay_alu instid0(VALU_DEP_2) | instskip(NEXT) | instid1(VALU_DEP_2)
	v_fmac_f32_e32 v24, 0x3f167918, v22
	v_fmac_f32_e32 v20, 0x3e9e377a, v23
	s_delay_alu instid0(VALU_DEP_2) | instskip(SKIP_4) | instid1(VALU_DEP_4)
	v_dual_fmac_f32 v24, 0x3e9e377a, v23 :: v_dual_add_f32 v23, v31, v32
	v_fmac_f32_e32 v16, 0xbf167918, v21
	v_sub_f32_e32 v30, v19, v41
	v_dual_fmac_f32 v14, 0x3f167918, v21 :: v_dual_add_f32 v21, v28, v43
	v_add_f32_e32 v22, v39, v45
	v_dual_fmac_f32 v16, 0x3e9e377a, v17 :: v_dual_add_f32 v31, v44, v48
	s_delay_alu instid0(VALU_DEP_3) | instskip(NEXT) | instid1(VALU_DEP_3)
	v_dual_fmac_f32 v14, 0x3e9e377a, v17 :: v_dual_add_f32 v21, v21, v26
	v_fmac_f32_e32 v25, -0.5, v22
	v_sub_f32_e32 v28, v40, v42
	v_sub_f32_e32 v26, v26, v45
	s_delay_alu instid0(VALU_DEP_4) | instskip(NEXT) | instid1(VALU_DEP_4)
	v_add_f32_e32 v19, v21, v45
	v_fmamk_f32 v21, v30, 0xbf737871, v25
	s_delay_alu instid0(VALU_DEP_4) | instskip(SKIP_1) | instid1(VALU_DEP_3)
	v_fmamk_f32 v17, v28, 0x3f737871, v15
	v_fmac_f32_e32 v15, 0xbf737871, v28
	v_fmac_f32_e32 v21, 0x3f167918, v28
	s_delay_alu instid0(VALU_DEP_2) | instskip(NEXT) | instid1(VALU_DEP_1)
	v_fmac_f32_e32 v15, 0xbf167918, v30
	v_fmac_f32_e32 v15, 0x3e9e377a, v23
	v_dual_sub_f32 v22, v43, v39 :: v_dual_fmac_f32 v25, 0x3f737871, v30
	v_dual_fmac_f32 v17, 0x3f167918, v30 :: v_dual_sub_f32 v30, v49, v48
	s_delay_alu instid0(VALU_DEP_2) | instskip(SKIP_1) | instid1(VALU_DEP_3)
	v_dual_add_f32 v32, v22, v26 :: v_dual_fmac_f32 v25, 0xbf167918, v28
	v_add_f32_e32 v26, v2, v27
	v_fmac_f32_e32 v17, 0x3e9e377a, v23
	v_fma_f32 v22, -0.5, v31, v2
	v_sub_f32_e32 v31, v46, v50
	v_fmac_f32_e32 v25, 0x3e9e377a, v32
	v_add_f32_e32 v23, v26, v44
	v_sub_f32_e32 v28, v27, v44
	v_fmac_f32_e32 v21, 0x3e9e377a, v32
	v_fmamk_f32 v26, v31, 0xbf737871, v22
	s_delay_alu instid0(VALU_DEP_4) | instskip(NEXT) | instid1(VALU_DEP_4)
	v_dual_fmac_f32 v22, 0x3f737871, v31 :: v_dual_add_f32 v23, v23, v48
	v_add_f32_e32 v30, v28, v30
	v_fma_f32 v2, -0.5, v34, v2
	v_sub_f32_e32 v34, v48, v49
	v_fmac_f32_e32 v26, 0xbf167918, v33
	v_add_f32_e32 v28, v23, v49
	s_delay_alu instid0(VALU_DEP_2) | instskip(NEXT) | instid1(VALU_DEP_1)
	v_dual_add_f32 v23, v47, v29 :: v_dual_fmac_f32 v26, 0x3e9e377a, v30
	v_fma_f32 v23, -0.5, v23, v3
	s_delay_alu instid0(VALU_DEP_1) | instskip(NEXT) | instid1(VALU_DEP_1)
	v_dual_sub_f32 v32, v44, v27 :: v_dual_fmamk_f32 v27, v35, 0x3f737871, v23
	v_add_f32_e32 v32, v32, v34
	v_sub_f32_e32 v34, v44, v48
	v_fmac_f32_e32 v22, 0x3f167918, v33
	v_fmac_f32_e32 v23, 0xbf737871, v35
	s_delay_alu instid0(VALU_DEP_3) | instskip(NEXT) | instid1(VALU_DEP_3)
	v_fmac_f32_e32 v27, 0x3f167918, v34
	v_fmac_f32_e32 v22, 0x3e9e377a, v30
	v_fmamk_f32 v30, v33, 0x3f737871, v2
	v_dual_fmac_f32 v2, 0xbf737871, v33 :: v_dual_add_f32 v33, v3, v46
	s_delay_alu instid0(VALU_DEP_2) | instskip(NEXT) | instid1(VALU_DEP_2)
	v_dual_fmac_f32 v23, 0xbf167918, v34 :: v_dual_fmac_f32 v30, 0xbf167918, v31
	v_fmac_f32_e32 v2, 0x3f167918, v31
	s_delay_alu instid0(VALU_DEP_3) | instskip(SKIP_1) | instid1(VALU_DEP_1)
	v_add_f32_e32 v31, v33, v47
	v_add_f32_e32 v33, v46, v50
	v_fmac_f32_e32 v3, -0.5, v33
	v_sub_f32_e32 v33, v46, v47
	s_delay_alu instid0(VALU_DEP_1)
	v_add_f32_e32 v33, v33, v36
	v_fmac_f32_e32 v30, 0x3e9e377a, v32
	v_fmac_f32_e32 v2, 0x3e9e377a, v32
	v_dual_add_f32 v32, v31, v29 :: v_dual_fmamk_f32 v31, v34, 0xbf737871, v3
	v_fmac_f32_e32 v3, 0x3f737871, v34
	v_sub_f32_e32 v29, v29, v50
	v_fmac_f32_e32 v27, 0x3e9e377a, v33
	v_fmac_f32_e32 v23, 0x3e9e377a, v33
	;; [unrolled: 1-line block ×3, first 2 shown]
	s_delay_alu instid0(VALU_DEP_4) | instskip(SKIP_1) | instid1(VALU_DEP_2)
	v_dual_fmac_f32 v3, 0xbf167918, v35 :: v_dual_add_f32 v34, v37, v29
	v_add_f32_e32 v29, v32, v50
	v_fmac_f32_e32 v3, 0x3e9e377a, v34
	s_delay_alu instid0(VALU_DEP_4)
	v_fmac_f32_e32 v31, 0x3e9e377a, v34
	ds_store_b64 v177, v[6:7] offset:3024
	ds_store_b64 v177, v[12:13] offset:6048
	;; [unrolled: 1-line block ×4, first 2 shown]
	ds_store_2addr_b64 v177, v[10:11], v[18:19] offset1:126
	ds_store_b64 v177, v[24:25] offset:10080
	ds_store_b64 v177, v[14:15] offset:13104
	;; [unrolled: 1-line block ×4, first 2 shown]
	ds_store_2addr_b64 v0, v[16:17], v[26:27] offset0:120 offset1:246
	ds_store_b64 v177, v[30:31] offset:8064
	ds_store_b64 v177, v[2:3] offset:11088
	;; [unrolled: 1-line block ×3, first 2 shown]
	global_wb scope:SCOPE_SE
	s_wait_dscnt 0x0
	s_barrier_signal -1
	s_barrier_wait -1
	global_inv scope:SCOPE_SE
	ds_load_2addr_b64 v[2:5], v177 offset1:126
	v_add_nc_u32_e32 v6, 0x1600, v177
	v_mad_co_u64_u32 v[22:23], null, s4, v178, 0
	ds_load_2addr_b64 v[6:9], v6 offset0:52 offset1:241
	s_wait_dscnt 0x1
	v_dual_mul_f32 v10, v162, v3 :: v_dual_mul_f32 v17, v160, v4
	s_delay_alu instid0(VALU_DEP_1)
	v_fmac_f32_e32 v10, v161, v2
	v_mul_f32_e32 v2, v162, v2
	s_wait_dscnt 0x0
	v_mul_f32_e32 v14, v158, v8
	v_mul_f32_e32 v48, v152, v7
	v_mul_f32_e32 v49, v152, v6
	v_fma_f32 v2, v161, v3, -v2
	v_mul_f32_e32 v3, v158, v9
	v_cvt_f64_f32_e32 v[10:11], v10
	v_fmac_f32_e32 v48, v151, v6
	v_fma_f32 v49, v151, v7, -v49
	v_cvt_f64_f32_e32 v[12:13], v2
	v_fma_f32 v2, v157, v9, -v14
	v_fmac_f32_e32 v3, v157, v8
	s_delay_alu instid0(VALU_DEP_2) | instskip(SKIP_1) | instid1(VALU_DEP_3)
	v_cvt_f64_f32_e32 v[14:15], v2
	v_fma_f32 v2, v159, v5, -v17
	v_cvt_f64_f32_e32 v[8:9], v3
	s_delay_alu instid0(VALU_DEP_2)
	v_cvt_f64_f32_e32 v[18:19], v2
	s_wait_alu 0xfffe
	v_mul_f64_e32 v[20:21], s[2:3], v[10:11]
	v_mad_co_u64_u32 v[10:11], null, s6, v148, 0
	v_mul_f64_e32 v[12:13], s[2:3], v[12:13]
	v_mul_f64_e32 v[14:15], s[2:3], v[14:15]
	;; [unrolled: 1-line block ×3, first 2 shown]
	s_delay_alu instid0(VALU_DEP_4) | instskip(SKIP_1) | instid1(VALU_DEP_2)
	v_dual_mov_b32 v8, v11 :: v_dual_mov_b32 v9, v23
	v_mul_f64_e32 v[18:19], s[2:3], v[18:19]
	v_mad_co_u64_u32 v[28:29], null, s7, v148, v[8:9]
	v_mad_co_u64_u32 v[8:9], null, s5, v178, v[9:10]
	s_delay_alu instid0(VALU_DEP_2) | instskip(NEXT) | instid1(VALU_DEP_2)
	v_dual_mov_b32 v11, v28 :: v_dual_add_nc_u32 v2, 0x2000, v177
	v_mov_b32_e32 v23, v8
	s_delay_alu instid0(VALU_DEP_2)
	v_lshlrev_b64_e32 v[28:29], 3, v[10:11]
	ds_load_2addr_b64 v[8:11], v1 offset0:124 offset1:250
	v_mul_f32_e32 v16, v160, v5
	v_lshlrev_b64_e32 v[22:23], 3, v[22:23]
	v_add_co_u32 v1, s0, s8, v28
	s_wait_alu 0xf1ff
	v_add_co_ci_u32_e64 v28, s0, s9, v29, s0
	v_cvt_f32_f64_e32 v20, v[20:21]
	s_delay_alu instid0(VALU_DEP_3) | instskip(SKIP_1) | instid1(VALU_DEP_3)
	v_add_co_u32 v22, s0, v1, v22
	s_wait_alu 0xf1ff
	v_add_co_ci_u32_e64 v23, s0, v28, v23, s0
	v_cvt_f32_f64_e32 v21, v[12:13]
	s_mul_u64 s[0:1], s[4:5], 0x3b1
	s_movk_i32 s8, 0xfccd
	v_cvt_f32_f64_e32 v24, v[24:25]
	v_cvt_f32_f64_e32 v25, v[14:15]
	s_wait_alu 0xfffe
	s_lshl_b64 s[6:7], s[0:1], 3
	s_mov_b32 s9, -1
	v_cvt_f32_f64_e32 v29, v[18:19]
	s_wait_dscnt 0x0
	v_mul_f32_e32 v19, v135, v11
	v_fmac_f32_e32 v16, v159, v4
	ds_load_2addr_b64 v[2:5], v2 offset0:47 offset1:173
	s_wait_alu 0xfffe
	v_add_co_u32 v52, s0, v22, s6
	v_fmac_f32_e32 v19, v134, v10
	v_mul_f32_e32 v10, v135, v10
	s_mul_u64 s[4:5], s[4:5], s[8:9]
	v_add_co_ci_u32_e64 v53, s0, s7, v23, s0
	s_delay_alu instid0(VALU_DEP_3) | instskip(NEXT) | instid1(VALU_DEP_3)
	v_cvt_f64_f32_e32 v[36:37], v19
	v_fma_f32 v10, v134, v11, -v10
	s_wait_alu 0xfffe
	s_lshl_b64 s[4:5], s[4:5], 3
	s_wait_alu 0xfffe
	v_add_co_u32 v54, s0, v52, s4
	s_wait_alu 0xf1ff
	v_add_co_ci_u32_e64 v55, s0, s5, v53, s0
	s_wait_dscnt 0x0
	v_mul_f32_e32 v1, v156, v2
	v_cvt_f64_f32_e32 v[16:17], v16
	v_mul_f32_e32 v26, v156, v3
	v_mul_f32_e32 v18, v150, v4
	s_delay_alu instid0(VALU_DEP_4) | instskip(NEXT) | instid1(VALU_DEP_1)
	v_fma_f32 v1, v155, v3, -v1
	v_cvt_f64_f32_e32 v[30:31], v1
	v_mul_f64_e32 v[36:37], s[2:3], v[36:37]
	v_mul_f64_e32 v[16:17], s[2:3], v[16:17]
	s_delay_alu instid0(VALU_DEP_3) | instskip(NEXT) | instid1(VALU_DEP_3)
	v_mul_f64_e32 v[30:31], s[2:3], v[30:31]
	v_cvt_f32_f64_e32 v36, v[36:37]
	s_delay_alu instid0(VALU_DEP_3) | instskip(SKIP_1) | instid1(VALU_DEP_1)
	v_cvt_f32_f64_e32 v28, v[16:17]
	v_dual_mul_f32 v17, v150, v5 :: v_dual_fmac_f32 v26, v155, v2
	v_dual_fmac_f32 v17, v149, v4 :: v_dual_add_nc_u32 v2, 0x2800, v177
	s_delay_alu instid0(VALU_DEP_2)
	v_cvt_f64_f32_e32 v[26:27], v26
	ds_load_2addr_b64 v[12:15], v2 offset0:43 offset1:169
	ds_load_2addr_b64 v[0:3], v0 offset0:120 offset1:246
	s_wait_dscnt 0x1
	v_dual_mul_f32 v16, v145, v9 :: v_dual_mul_f32 v43, v139, v14
	s_wait_dscnt 0x0
	v_mul_f32_e32 v41, v147, v0
	s_delay_alu instid0(VALU_DEP_2) | instskip(SKIP_2) | instid1(VALU_DEP_3)
	v_fmac_f32_e32 v16, v144, v8
	v_dual_mul_f32 v8, v145, v8 :: v_dual_mul_f32 v45, v143, v2
	v_dual_mul_f32 v39, v137, v12 :: v_dual_mul_f32 v40, v147, v1
	v_cvt_f64_f32_e32 v[32:33], v16
	s_delay_alu instid0(VALU_DEP_3)
	v_fma_f32 v8, v144, v9, -v8
	v_fma_f32 v16, v149, v5, -v18
	v_add_nc_u32_e32 v18, 0x3000, v177
	v_fmac_f32_e32 v40, v146, v0
	v_fma_f32 v41, v146, v1, -v41
	v_cvt_f64_f32_e32 v[4:5], v8
	v_cvt_f64_f32_e32 v[8:9], v17
	;; [unrolled: 1-line block ×3, first 2 shown]
	ds_load_2addr_b64 v[16:19], v18 offset0:39 offset1:165
	v_mul_f32_e32 v38, v137, v13
	v_cvt_f64_f32_e32 v[0:1], v10
	v_mul_f32_e32 v42, v139, v15
	v_mul_f32_e32 v44, v143, v3
	v_fma_f32 v45, v142, v3, -v45
	v_mul_f64_e32 v[26:27], s[2:3], v[26:27]
	s_clause 0x2
	global_store_b64 v[22:23], v[20:21], off
	global_store_b64 v[52:53], v[24:25], off
	;; [unrolled: 1-line block ×3, first 2 shown]
	v_fmac_f32_e32 v42, v138, v14
	v_fma_f32 v14, v138, v15, -v43
	v_fmac_f32_e32 v44, v142, v2
	s_delay_alu instid0(VALU_DEP_3) | instskip(NEXT) | instid1(VALU_DEP_3)
	v_cvt_f64_f32_e32 v[2:3], v42
	v_cvt_f64_f32_e32 v[14:15], v14
	s_delay_alu instid0(VALU_DEP_3)
	v_cvt_f64_f32_e32 v[42:43], v44
	v_cvt_f64_f32_e32 v[44:45], v45
	s_wait_dscnt 0x0
	v_dual_mul_f32 v51, v154, v18 :: v_dual_fmac_f32 v38, v136, v12
	v_fma_f32 v12, v136, v13, -v39
	v_mul_f32_e32 v46, v141, v17
	v_mul_f32_e32 v50, v154, v19
	s_delay_alu instid0(VALU_DEP_4)
	v_fma_f32 v51, v153, v19, -v51
	v_cvt_f64_f32_e32 v[10:11], v38
	v_cvt_f64_f32_e32 v[12:13], v12
	v_fmac_f32_e32 v46, v140, v16
	v_mul_f32_e32 v16, v141, v16
	v_fmac_f32_e32 v50, v153, v18
	v_cvt_f64_f32_e32 v[38:39], v40
	v_cvt_f64_f32_e32 v[40:41], v41
	;; [unrolled: 1-line block ×3, first 2 shown]
	v_fma_f32 v16, v140, v17, -v16
	v_cvt_f64_f32_e32 v[46:47], v46
	v_mul_f64_e32 v[32:33], s[2:3], v[32:33]
	v_mul_f64_e32 v[4:5], s[2:3], v[4:5]
	v_mul_f64_e32 v[8:9], s[2:3], v[8:9]
	v_cvt_f64_f32_e32 v[6:7], v16
	v_cvt_f64_f32_e32 v[16:17], v48
	;; [unrolled: 1-line block ×4, first 2 shown]
	v_mul_f64_e32 v[34:35], s[2:3], v[34:35]
	v_mul_f64_e32 v[0:1], s[2:3], v[0:1]
	v_cvt_f32_f64_e32 v26, v[26:27]
	v_cvt_f32_f64_e32 v27, v[30:31]
	v_add_co_u32 v30, s0, v54, s6
	s_wait_alu 0xf1ff
	v_add_co_ci_u32_e64 v31, s0, s7, v55, s0
	v_mul_f64_e32 v[2:3], s[2:3], v[2:3]
	v_mul_f64_e32 v[14:15], s[2:3], v[14:15]
	v_mul_f64_e32 v[24:25], s[2:3], v[42:43]
	v_mul_f64_e32 v[28:29], s[2:3], v[44:45]
	v_mul_f64_e32 v[10:11], s[2:3], v[10:11]
	v_mul_f64_e32 v[12:13], s[2:3], v[12:13]
	v_mul_f64_e32 v[20:21], s[2:3], v[38:39]
	v_mul_f64_e32 v[22:23], s[2:3], v[40:41]
	v_mul_f64_e32 v[18:19], s[2:3], v[18:19]
	v_mul_f64_e32 v[38:39], s[2:3], v[46:47]
	v_cvt_f32_f64_e32 v32, v[32:33]
	v_cvt_f32_f64_e32 v33, v[4:5]
	;; [unrolled: 1-line block ×3, first 2 shown]
	v_mul_f64_e32 v[6:7], s[2:3], v[6:7]
	v_mul_f64_e32 v[16:17], s[2:3], v[16:17]
	;; [unrolled: 1-line block ×4, first 2 shown]
	v_cvt_f32_f64_e32 v9, v[34:35]
	v_cvt_f32_f64_e32 v37, v[0:1]
	v_add_co_u32 v4, s0, v30, s4
	s_wait_alu 0xf1ff
	v_add_co_ci_u32_e64 v5, s0, s5, v31, s0
	global_store_b64 v[30:31], v[26:27], off
	v_add_co_u32 v34, s0, v4, s6
	s_wait_alu 0xf1ff
	v_add_co_ci_u32_e64 v35, s0, s7, v5, s0
	v_cvt_f32_f64_e32 v2, v[2:3]
	v_cvt_f32_f64_e32 v3, v[14:15]
	;; [unrolled: 1-line block ×6, first 2 shown]
	v_add_co_u32 v10, s0, v34, s4
	s_wait_alu 0xf1ff
	v_add_co_ci_u32_e64 v11, s0, s5, v35, s0
	v_cvt_f32_f64_e32 v12, v[20:21]
	v_cvt_f32_f64_e32 v13, v[22:23]
	;; [unrolled: 1-line block ×3, first 2 shown]
	global_store_b64 v[4:5], v[32:33], off
	v_cvt_f32_f64_e32 v21, v[6:7]
	v_cvt_f32_f64_e32 v7, v[18:19]
	v_add_co_u32 v18, s0, v10, s6
	v_cvt_f32_f64_e32 v6, v[16:17]
	s_wait_alu 0xf1ff
	v_add_co_ci_u32_e64 v19, s0, s7, v11, s0
	v_cvt_f32_f64_e32 v16, v[40:41]
	v_cvt_f32_f64_e32 v17, v[42:43]
	v_add_co_u32 v22, s0, v18, s4
	s_wait_alu 0xf1ff
	v_add_co_ci_u32_e64 v23, s0, s5, v19, s0
	global_store_b64 v[34:35], v[8:9], off
	v_add_co_u32 v4, s0, v22, s6
	s_wait_alu 0xf1ff
	v_add_co_ci_u32_e64 v5, s0, s7, v23, s0
	global_store_b64 v[10:11], v[36:37], off
	v_add_co_u32 v8, s0, v4, s4
	s_wait_alu 0xf1ff
	v_add_co_ci_u32_e64 v9, s0, s5, v5, s0
	s_delay_alu instid0(VALU_DEP_2) | instskip(SKIP_1) | instid1(VALU_DEP_2)
	v_add_co_u32 v10, s0, v8, s6
	s_wait_alu 0xf1ff
	v_add_co_ci_u32_e64 v11, s0, s7, v9, s0
	global_store_b64 v[18:19], v[0:1], off
	v_add_co_u32 v18, s0, v10, s4
	s_wait_alu 0xf1ff
	v_add_co_ci_u32_e64 v19, s0, s5, v11, s0
	global_store_b64 v[22:23], v[12:13], off
	;; [unrolled: 4-line block ×3, first 2 shown]
	global_store_b64 v[8:9], v[14:15], off
	global_store_b64 v[10:11], v[20:21], off
	;; [unrolled: 1-line block ×4, first 2 shown]
	s_and_b32 exec_lo, exec_lo, vcc_lo
	s_cbranch_execz .LBB0_23
; %bb.22:
	global_load_b64 v[2:3], v[132:133], off offset:7056
	ds_load_b64 v[4:5], v177 offset:7056
	ds_load_b64 v[6:7], v177 offset:14616
	v_add_co_u32 v0, vcc_lo, v0, s4
	s_wait_alu 0xfffd
	v_add_co_ci_u32_e32 v1, vcc_lo, s5, v1, vcc_lo
	s_wait_loadcnt_dscnt 0x1
	v_mul_f32_e32 v8, v5, v3
	v_mul_f32_e32 v3, v4, v3
	s_delay_alu instid0(VALU_DEP_2) | instskip(NEXT) | instid1(VALU_DEP_2)
	v_fmac_f32_e32 v8, v4, v2
	v_fma_f32 v4, v2, v5, -v3
	s_delay_alu instid0(VALU_DEP_2) | instskip(NEXT) | instid1(VALU_DEP_2)
	v_cvt_f64_f32_e32 v[2:3], v8
	v_cvt_f64_f32_e32 v[4:5], v4
	s_delay_alu instid0(VALU_DEP_2) | instskip(NEXT) | instid1(VALU_DEP_2)
	v_mul_f64_e32 v[2:3], s[2:3], v[2:3]
	v_mul_f64_e32 v[4:5], s[2:3], v[4:5]
	s_delay_alu instid0(VALU_DEP_2) | instskip(NEXT) | instid1(VALU_DEP_2)
	v_cvt_f32_f64_e32 v2, v[2:3]
	v_cvt_f32_f64_e32 v3, v[4:5]
	global_store_b64 v[0:1], v[2:3], off
	global_load_b64 v[2:3], v[132:133], off offset:14616
	v_add_co_u32 v0, vcc_lo, v0, s6
	s_wait_alu 0xfffd
	v_add_co_ci_u32_e32 v1, vcc_lo, s7, v1, vcc_lo
	s_wait_loadcnt_dscnt 0x0
	v_mul_f32_e32 v4, v7, v3
	v_mul_f32_e32 v3, v6, v3
	s_delay_alu instid0(VALU_DEP_2) | instskip(NEXT) | instid1(VALU_DEP_2)
	v_fmac_f32_e32 v4, v6, v2
	v_fma_f32 v5, v2, v7, -v3
	s_delay_alu instid0(VALU_DEP_2) | instskip(NEXT) | instid1(VALU_DEP_2)
	v_cvt_f64_f32_e32 v[2:3], v4
	v_cvt_f64_f32_e32 v[4:5], v5
	s_delay_alu instid0(VALU_DEP_2) | instskip(NEXT) | instid1(VALU_DEP_2)
	v_mul_f64_e32 v[2:3], s[2:3], v[2:3]
	v_mul_f64_e32 v[4:5], s[2:3], v[4:5]
	s_delay_alu instid0(VALU_DEP_2) | instskip(NEXT) | instid1(VALU_DEP_2)
	v_cvt_f32_f64_e32 v2, v[2:3]
	v_cvt_f32_f64_e32 v3, v[4:5]
	global_store_b64 v[0:1], v[2:3], off
.LBB0_23:
	s_nop 0
	s_sendmsg sendmsg(MSG_DEALLOC_VGPRS)
	s_endpgm
	.section	.rodata,"a",@progbits
	.p2align	6, 0x0
	.amdhsa_kernel bluestein_single_fwd_len1890_dim1_sp_op_CI_CI
		.amdhsa_group_segment_fixed_size 15120
		.amdhsa_private_segment_fixed_size 0
		.amdhsa_kernarg_size 104
		.amdhsa_user_sgpr_count 2
		.amdhsa_user_sgpr_dispatch_ptr 0
		.amdhsa_user_sgpr_queue_ptr 0
		.amdhsa_user_sgpr_kernarg_segment_ptr 1
		.amdhsa_user_sgpr_dispatch_id 0
		.amdhsa_user_sgpr_private_segment_size 0
		.amdhsa_wavefront_size32 1
		.amdhsa_uses_dynamic_stack 0
		.amdhsa_enable_private_segment 0
		.amdhsa_system_sgpr_workgroup_id_x 1
		.amdhsa_system_sgpr_workgroup_id_y 0
		.amdhsa_system_sgpr_workgroup_id_z 0
		.amdhsa_system_sgpr_workgroup_info 0
		.amdhsa_system_vgpr_workitem_id 0
		.amdhsa_next_free_vgpr 220
		.amdhsa_next_free_sgpr 18
		.amdhsa_reserve_vcc 1
		.amdhsa_float_round_mode_32 0
		.amdhsa_float_round_mode_16_64 0
		.amdhsa_float_denorm_mode_32 3
		.amdhsa_float_denorm_mode_16_64 3
		.amdhsa_fp16_overflow 0
		.amdhsa_workgroup_processor_mode 1
		.amdhsa_memory_ordered 1
		.amdhsa_forward_progress 0
		.amdhsa_round_robin_scheduling 0
		.amdhsa_exception_fp_ieee_invalid_op 0
		.amdhsa_exception_fp_denorm_src 0
		.amdhsa_exception_fp_ieee_div_zero 0
		.amdhsa_exception_fp_ieee_overflow 0
		.amdhsa_exception_fp_ieee_underflow 0
		.amdhsa_exception_fp_ieee_inexact 0
		.amdhsa_exception_int_div_zero 0
	.end_amdhsa_kernel
	.text
.Lfunc_end0:
	.size	bluestein_single_fwd_len1890_dim1_sp_op_CI_CI, .Lfunc_end0-bluestein_single_fwd_len1890_dim1_sp_op_CI_CI
                                        ; -- End function
	.section	.AMDGPU.csdata,"",@progbits
; Kernel info:
; codeLenInByte = 19528
; NumSgprs: 20
; NumVgprs: 220
; ScratchSize: 0
; MemoryBound: 0
; FloatMode: 240
; IeeeMode: 1
; LDSByteSize: 15120 bytes/workgroup (compile time only)
; SGPRBlocks: 2
; VGPRBlocks: 27
; NumSGPRsForWavesPerEU: 20
; NumVGPRsForWavesPerEU: 220
; Occupancy: 6
; WaveLimiterHint : 1
; COMPUTE_PGM_RSRC2:SCRATCH_EN: 0
; COMPUTE_PGM_RSRC2:USER_SGPR: 2
; COMPUTE_PGM_RSRC2:TRAP_HANDLER: 0
; COMPUTE_PGM_RSRC2:TGID_X_EN: 1
; COMPUTE_PGM_RSRC2:TGID_Y_EN: 0
; COMPUTE_PGM_RSRC2:TGID_Z_EN: 0
; COMPUTE_PGM_RSRC2:TIDIG_COMP_CNT: 0
	.text
	.p2alignl 7, 3214868480
	.fill 96, 4, 3214868480
	.type	__hip_cuid_664ed58796133f,@object ; @__hip_cuid_664ed58796133f
	.section	.bss,"aw",@nobits
	.globl	__hip_cuid_664ed58796133f
__hip_cuid_664ed58796133f:
	.byte	0                               ; 0x0
	.size	__hip_cuid_664ed58796133f, 1

	.ident	"AMD clang version 19.0.0git (https://github.com/RadeonOpenCompute/llvm-project roc-6.4.0 25133 c7fe45cf4b819c5991fe208aaa96edf142730f1d)"
	.section	".note.GNU-stack","",@progbits
	.addrsig
	.addrsig_sym __hip_cuid_664ed58796133f
	.amdgpu_metadata
---
amdhsa.kernels:
  - .args:
      - .actual_access:  read_only
        .address_space:  global
        .offset:         0
        .size:           8
        .value_kind:     global_buffer
      - .actual_access:  read_only
        .address_space:  global
        .offset:         8
        .size:           8
        .value_kind:     global_buffer
      - .actual_access:  read_only
        .address_space:  global
        .offset:         16
        .size:           8
        .value_kind:     global_buffer
      - .actual_access:  read_only
        .address_space:  global
        .offset:         24
        .size:           8
        .value_kind:     global_buffer
      - .actual_access:  read_only
        .address_space:  global
        .offset:         32
        .size:           8
        .value_kind:     global_buffer
      - .offset:         40
        .size:           8
        .value_kind:     by_value
      - .address_space:  global
        .offset:         48
        .size:           8
        .value_kind:     global_buffer
      - .address_space:  global
        .offset:         56
        .size:           8
        .value_kind:     global_buffer
      - .address_space:  global
        .offset:         64
        .size:           8
        .value_kind:     global_buffer
      - .address_space:  global
        .offset:         72
        .size:           8
        .value_kind:     global_buffer
      - .offset:         80
        .size:           4
        .value_kind:     by_value
      - .address_space:  global
        .offset:         88
        .size:           8
        .value_kind:     global_buffer
      - .address_space:  global
        .offset:         96
        .size:           8
        .value_kind:     global_buffer
    .group_segment_fixed_size: 15120
    .kernarg_segment_align: 8
    .kernarg_segment_size: 104
    .language:       OpenCL C
    .language_version:
      - 2
      - 0
    .max_flat_workgroup_size: 126
    .name:           bluestein_single_fwd_len1890_dim1_sp_op_CI_CI
    .private_segment_fixed_size: 0
    .sgpr_count:     20
    .sgpr_spill_count: 0
    .symbol:         bluestein_single_fwd_len1890_dim1_sp_op_CI_CI.kd
    .uniform_work_group_size: 1
    .uses_dynamic_stack: false
    .vgpr_count:     220
    .vgpr_spill_count: 0
    .wavefront_size: 32
    .workgroup_processor_mode: 1
amdhsa.target:   amdgcn-amd-amdhsa--gfx1201
amdhsa.version:
  - 1
  - 2
...

	.end_amdgpu_metadata
